;; amdgpu-corpus repo=ROCm/rocFFT kind=compiled arch=gfx950 opt=O3
	.text
	.amdgcn_target "amdgcn-amd-amdhsa--gfx950"
	.amdhsa_code_object_version 6
	.protected	fft_rtc_back_len80_factors_2_2_4_5_wgs_190_tpt_5_dim3_sp_ip_CI_sbcc_twdbase8_3step_dirReg ; -- Begin function fft_rtc_back_len80_factors_2_2_4_5_wgs_190_tpt_5_dim3_sp_ip_CI_sbcc_twdbase8_3step_dirReg
	.globl	fft_rtc_back_len80_factors_2_2_4_5_wgs_190_tpt_5_dim3_sp_ip_CI_sbcc_twdbase8_3step_dirReg
	.p2align	8
	.type	fft_rtc_back_len80_factors_2_2_4_5_wgs_190_tpt_5_dim3_sp_ip_CI_sbcc_twdbase8_3step_dirReg,@function
fft_rtc_back_len80_factors_2_2_4_5_wgs_190_tpt_5_dim3_sp_ip_CI_sbcc_twdbase8_3step_dirReg: ; @fft_rtc_back_len80_factors_2_2_4_5_wgs_190_tpt_5_dim3_sp_ip_CI_sbcc_twdbase8_3step_dirReg
; %bb.0:
	s_load_dwordx4 s[4:7], s[0:1], 0x10
	s_mov_b32 s3, 0
	s_mov_b64 s[20:21], 0
	s_waitcnt lgkmcnt(0)
	s_load_dwordx2 s[10:11], s[4:5], 0x8
	s_waitcnt lgkmcnt(0)
	s_add_u32 s8, s10, -1
	s_addc_u32 s9, s11, -1
	s_add_u32 s12, 0, 0x286b7a80
	s_addc_u32 s13, 0, 23
	s_mul_hi_u32 s15, s12, 0xffffffda
	s_add_i32 s13, s13, 0x6bca198
	s_sub_i32 s15, s15, s12
	s_mul_i32 s18, s13, 0xffffffda
	s_mul_i32 s14, s12, 0xffffffda
	s_add_i32 s15, s15, s18
	s_mul_hi_u32 s16, s13, s14
	s_mul_i32 s17, s13, s14
	s_mul_i32 s19, s12, s15
	s_mul_hi_u32 s14, s12, s14
	s_mul_hi_u32 s18, s12, s15
	s_add_u32 s14, s14, s19
	s_addc_u32 s18, 0, s18
	s_add_u32 s14, s14, s17
	s_mul_hi_u32 s19, s13, s15
	s_addc_u32 s14, s18, s16
	s_addc_u32 s16, s19, 0
	s_mul_i32 s15, s13, s15
	s_add_u32 s14, s14, s15
	v_mov_b32_e32 v1, s14
	s_addc_u32 s15, 0, s16
	v_add_co_u32_e32 v1, vcc, s12, v1
	s_cmp_lg_u64 vcc, 0
	s_addc_u32 s12, s13, s15
	v_readfirstlane_b32 s15, v1
	s_mul_i32 s14, s8, s12
	s_mul_hi_u32 s16, s8, s15
	s_mul_hi_u32 s13, s8, s12
	s_add_u32 s14, s16, s14
	s_addc_u32 s13, 0, s13
	s_mul_hi_u32 s17, s9, s15
	s_mul_i32 s15, s9, s15
	s_add_u32 s14, s14, s15
	s_mul_hi_u32 s16, s9, s12
	s_addc_u32 s13, s13, s17
	s_addc_u32 s14, s16, 0
	s_mul_i32 s12, s9, s12
	s_add_u32 s12, s13, s12
	s_addc_u32 s13, 0, s14
	s_add_u32 s14, s12, 1
	s_addc_u32 s15, s13, 0
	s_add_u32 s16, s12, 2
	s_mul_i32 s18, s13, 38
	s_mul_hi_u32 s19, s12, 38
	s_addc_u32 s17, s13, 0
	s_add_i32 s19, s19, s18
	s_mul_i32 s18, s12, 38
	v_mov_b32_e32 v1, s18
	v_sub_co_u32_e32 v1, vcc, s8, v1
	s_cmp_lg_u64 vcc, 0
	s_subb_u32 s8, s9, s19
	v_subrev_co_u32_e32 v2, vcc, 38, v1
	s_cmp_lg_u64 vcc, 0
	s_subb_u32 s9, s8, 0
	v_readfirstlane_b32 s18, v2
	s_cmp_gt_u32 s18, 37
	s_cselect_b32 s18, -1, 0
	s_cmp_eq_u32 s9, 0
	s_cselect_b32 s9, s18, -1
	s_cmp_lg_u32 s9, 0
	s_cselect_b32 s9, s16, s14
	s_cselect_b32 s14, s17, s15
	v_readfirstlane_b32 s15, v1
	s_cmp_gt_u32 s15, 37
	s_cselect_b32 s15, -1, 0
	s_cmp_eq_u32 s8, 0
	s_cselect_b32 s8, s15, -1
	s_cmp_lg_u32 s8, 0
	s_cselect_b32 s9, s9, s12
	s_cselect_b32 s8, s14, s13
	s_add_u32 s18, s9, 1
	s_addc_u32 s19, s8, 0
	v_mov_b64_e32 v[2:3], s[18:19]
	v_cmp_lt_u64_e32 vcc, s[2:3], v[2:3]
	s_cbranch_vccnz .LBB0_2
; %bb.1:
	v_cvt_f32_u32_e32 v1, s18
	s_sub_i32 s8, 0, s18
	s_mov_b32 s21, s3
	v_rcp_iflag_f32_e32 v1, v1
	s_nop 0
	v_mul_f32_e32 v1, 0x4f7ffffe, v1
	v_cvt_u32_f32_e32 v1, v1
	s_nop 0
	v_readfirstlane_b32 s9, v1
	s_mul_i32 s8, s8, s9
	s_mul_hi_u32 s8, s9, s8
	s_add_i32 s9, s9, s8
	s_mul_hi_u32 s8, s2, s9
	s_mul_i32 s12, s8, s18
	s_sub_i32 s12, s2, s12
	s_add_i32 s9, s8, 1
	s_sub_i32 s13, s12, s18
	s_cmp_ge_u32 s12, s18
	s_cselect_b32 s8, s9, s8
	s_cselect_b32 s12, s13, s12
	s_add_i32 s9, s8, 1
	s_cmp_ge_u32 s12, s18
	s_cselect_b32 s20, s9, s8
.LBB0_2:
	s_load_dwordx2 s[8:9], s[4:5], 0x10
	s_load_dwordx2 s[12:13], s[6:7], 0x8
	s_mov_b64 s[4:5], s[20:21]
	s_waitcnt lgkmcnt(0)
	v_mov_b64_e32 v[2:3], s[8:9]
	v_cmp_lt_u64_e32 vcc, s[20:21], v[2:3]
	s_cbranch_vccnz .LBB0_4
; %bb.3:
	v_cvt_f32_u32_e32 v1, s8
	s_sub_i32 s4, 0, s8
	v_rcp_iflag_f32_e32 v1, v1
	s_nop 0
	v_mul_f32_e32 v1, 0x4f7ffffe, v1
	v_cvt_u32_f32_e32 v1, v1
	s_nop 0
	v_readfirstlane_b32 s5, v1
	s_mul_i32 s4, s4, s5
	s_mul_hi_u32 s4, s5, s4
	s_add_i32 s5, s5, s4
	s_mul_hi_u32 s4, s20, s5
	s_mul_i32 s4, s4, s8
	s_sub_i32 s4, s20, s4
	s_sub_i32 s5, s4, s8
	s_cmp_ge_u32 s4, s8
	s_cselect_b32 s4, s5, s4
	s_sub_i32 s5, s4, s8
	s_cmp_ge_u32 s4, s8
	s_cselect_b32 s4, s5, s4
.LBB0_4:
	s_mul_i32 s5, s8, s19
	s_mul_hi_u32 s16, s8, s18
	s_add_i32 s5, s16, s5
	s_mul_i32 s9, s9, s18
	s_load_dwordx2 s[14:15], s[0:1], 0x50
	s_add_i32 s17, s5, s9
	s_mul_i32 s16, s8, s18
	s_load_dwordx2 s[8:9], s[6:7], 0x0
	s_load_dwordx2 s[22:23], s[6:7], 0x10
	v_mov_b64_e32 v[2:3], s[16:17]
	v_cmp_lt_u64_e32 vcc, s[2:3], v[2:3]
	s_mov_b64 s[24:25], 0
	s_cbranch_vccnz .LBB0_6
; %bb.5:
	v_cvt_f32_u32_e32 v1, s16
	s_sub_i32 s3, 0, s16
	v_rcp_iflag_f32_e32 v1, v1
	s_nop 0
	v_mul_f32_e32 v1, 0x4f7ffffe, v1
	v_cvt_u32_f32_e32 v1, v1
	s_nop 0
	v_readfirstlane_b32 s5, v1
	s_mul_i32 s3, s3, s5
	s_mul_hi_u32 s3, s5, s3
	s_add_i32 s5, s5, s3
	s_mul_hi_u32 s3, s2, s5
	s_mul_i32 s17, s3, s16
	s_sub_i32 s17, s2, s17
	s_add_i32 s5, s3, 1
	s_sub_i32 s21, s17, s16
	s_cmp_ge_u32 s17, s16
	s_cselect_b32 s3, s5, s3
	s_cselect_b32 s17, s21, s17
	s_add_i32 s5, s3, 1
	s_cmp_ge_u32 s17, s16
	s_cselect_b32 s24, s5, s3
.LBB0_6:
	s_mul_i32 s3, s20, s19
	s_mul_hi_u32 s5, s20, s18
	s_add_i32 s5, s5, s3
	s_mul_i32 s3, s20, s18
	s_sub_u32 s18, s2, s3
	s_subb_u32 s2, 0, s5
	s_mul_i32 s5, s2, 38
	s_mul_hi_u32 s2, s18, 38
	s_add_i32 s19, s2, s5
	s_mul_i32 s20, s18, 38
	s_mul_i32 s2, s12, s19
	s_mul_hi_u32 s3, s12, s20
	s_add_i32 s2, s3, s2
	s_mul_i32 s3, s13, s20
	s_add_i32 s21, s2, s3
	s_load_dwordx2 s[2:3], s[6:7], 0x18
	s_waitcnt lgkmcnt(0)
	s_mul_i32 s23, s23, s4
	s_mul_hi_u32 s26, s22, s4
	s_mul_i32 s25, s12, s20
	s_add_i32 s26, s26, s23
	s_mul_i32 s4, s22, s4
	v_mul_u32_u24_e32 v1, 0x6bd, v0
	s_add_u32 s4, s4, s25
	s_mul_i32 s3, s3, s24
	s_mul_hi_u32 s6, s2, s24
	v_lshrrev_b32_e32 v1, 16, v1
	s_addc_u32 s7, s26, s21
	s_add_i32 s3, s6, s3
	s_mul_i32 s2, s2, s24
	v_mul_lo_u16_e32 v2, 38, v1
	s_add_u32 s6, s2, s4
	v_sub_u16_e32 v26, v0, v2
	v_mov_b32_e32 v27, 0
	s_load_dwordx2 s[16:17], s[0:1], 0x0
	s_addc_u32 s7, s3, s7
	v_mad_u64_u32 v[28:29], s[2:3], s18, 38, v[26:27]
	s_add_u32 s2, s20, 38
	s_addc_u32 s3, s19, 0
	v_mov_b64_e32 v[2:3], s[10:11]
	v_cmp_gt_u64_e32 vcc, s[2:3], v[2:3]
	v_add_u32_e32 v29, s5, v29
	v_cmp_le_u64_e64 s[4:5], s[2:3], v[2:3]
	s_and_b64 vcc, exec, vcc
	v_add_u32_e32 v42, 5, v1
	v_add_u32_e32 v43, 10, v1
	;; [unrolled: 1-line block ×7, first 2 shown]
	s_cbranch_vccnz .LBB0_8
; %bb.7:
	v_mad_u64_u32 v[2:3], s[2:3], s12, v26, 0
	v_mov_b32_e32 v4, v3
	v_mad_u64_u32 v[4:5], s[2:3], s13, v26, v[4:5]
	v_mov_b32_e32 v3, v4
	;; [unrolled: 2-line block ×3, first 2 shown]
	v_mad_u64_u32 v[6:7], s[2:3], s9, v1, v[6:7]
	s_lshl_b64 s[2:3], s[6:7], 3
	s_add_u32 s2, s14, s2
	s_addc_u32 s3, s15, s3
	v_mov_b32_e32 v5, v6
	v_lshl_add_u64 v[30:31], v[2:3], 3, s[2:3]
	v_lshl_add_u64 v[10:11], v[4:5], 3, v[30:31]
	v_or_b32_e32 v5, 40, v1
	v_mad_u64_u32 v[2:3], s[2:3], s8, v5, 0
	v_mov_b32_e32 v4, v3
	v_mad_u64_u32 v[4:5], s[2:3], s9, v5, v[4:5]
	v_mov_b32_e32 v3, v4
	v_add_u32_e32 v104, 5, v1
	v_lshl_add_u64 v[12:13], v[2:3], 3, v[30:31]
	v_mad_u64_u32 v[2:3], s[2:3], s8, v104, 0
	v_mov_b32_e32 v4, v3
	v_mad_u64_u32 v[4:5], s[2:3], s9, v104, v[4:5]
	v_mov_b32_e32 v3, v4
	v_add_u32_e32 v5, 45, v1
	v_lshl_add_u64 v[14:15], v[2:3], 3, v[30:31]
	;; [unrolled: 6-line block ×3, first 2 shown]
	global_load_dwordx2 v[2:3], v[10:11], off
	global_load_dwordx2 v[6:7], v[12:13], off
	global_load_dwordx2 v[4:5], v[14:15], off
	global_load_dwordx2 v[8:9], v[16:17], off
	v_mad_u64_u32 v[10:11], s[2:3], s8, v27, 0
	v_mov_b32_e32 v12, v11
	v_mad_u64_u32 v[12:13], s[2:3], s9, v27, v[12:13]
	v_mov_b32_e32 v11, v12
	v_add_u32_e32 v13, 50, v1
	v_lshl_add_u64 v[18:19], v[10:11], 3, v[30:31]
	v_mad_u64_u32 v[10:11], s[2:3], s8, v13, 0
	v_mov_b32_e32 v12, v11
	v_mad_u64_u32 v[12:13], s[2:3], s9, v13, v[12:13]
	v_mov_b32_e32 v11, v12
	v_add_u32_e32 v105, 15, v1
	v_lshl_add_u64 v[20:21], v[10:11], 3, v[30:31]
	;; [unrolled: 6-line block ×4, first 2 shown]
	global_load_dwordx2 v[10:11], v[18:19], off
	global_load_dwordx2 v[14:15], v[20:21], off
	;; [unrolled: 1-line block ×4, first 2 shown]
	v_mad_u64_u32 v[18:19], s[2:3], s8, v38, 0
	v_mov_b32_e32 v20, v19
	v_mad_u64_u32 v[20:21], s[2:3], s9, v38, v[20:21]
	v_mov_b32_e32 v19, v20
	v_add_u32_e32 v21, 60, v1
	v_lshl_add_u64 v[32:33], v[18:19], 3, v[30:31]
	v_mad_u64_u32 v[18:19], s[2:3], s8, v21, 0
	v_mov_b32_e32 v20, v19
	v_mad_u64_u32 v[20:21], s[2:3], s9, v21, v[20:21]
	v_mov_b32_e32 v19, v20
	v_add_u32_e32 v39, 25, v1
	v_lshl_add_u64 v[34:35], v[18:19], 3, v[30:31]
	;; [unrolled: 6-line block ×3, first 2 shown]
	v_mad_u64_u32 v[18:19], s[2:3], s8, v21, 0
	v_mov_b32_e32 v20, v19
	v_mad_u64_u32 v[20:21], s[2:3], s9, v21, v[20:21]
	v_mov_b32_e32 v19, v20
	v_lshl_add_u64 v[40:41], v[18:19], 3, v[30:31]
	global_load_dwordx2 v[18:19], v[32:33], off
	global_load_dwordx2 v[22:23], v[34:35], off
	;; [unrolled: 1-line block ×4, first 2 shown]
	v_add_u32_e32 v40, 30, v1
	v_mad_u64_u32 v[32:33], s[2:3], s8, v40, 0
	v_mov_b32_e32 v34, v33
	v_mad_u64_u32 v[34:35], s[2:3], s9, v40, v[34:35]
	v_mov_b32_e32 v33, v34
	v_add_u32_e32 v35, 0x46, v1
	v_lshl_add_u64 v[50:51], v[32:33], 3, v[30:31]
	v_mad_u64_u32 v[32:33], s[2:3], s8, v35, 0
	v_mov_b32_e32 v34, v33
	v_mad_u64_u32 v[34:35], s[2:3], s9, v35, v[34:35]
	v_mov_b32_e32 v33, v34
	v_add_u32_e32 v41, 35, v1
	v_lshl_add_u64 v[52:53], v[32:33], 3, v[30:31]
	;; [unrolled: 6-line block ×3, first 2 shown]
	v_mad_u64_u32 v[32:33], s[2:3], s8, v35, 0
	v_mov_b32_e32 v34, v33
	v_mad_u64_u32 v[34:35], s[2:3], s9, v35, v[34:35]
	v_mov_b32_e32 v33, v34
	v_lshl_add_u64 v[56:57], v[32:33], 3, v[30:31]
	global_load_dwordx2 v[30:31], v[50:51], off
	global_load_dwordx2 v[34:35], v[52:53], off
	global_load_dwordx2 v[32:33], v[54:55], off
	global_load_dwordx2 v[36:37], v[56:57], off
	s_cbranch_execz .LBB0_9
	s_branch .LBB0_14
.LBB0_8:
                                        ; implicit-def: $vgpr7
                                        ; implicit-def: $vgpr3
                                        ; implicit-def: $vgpr9
                                        ; implicit-def: $vgpr5
                                        ; implicit-def: $vgpr15
                                        ; implicit-def: $vgpr11
                                        ; implicit-def: $vgpr17
                                        ; implicit-def: $vgpr13
                                        ; implicit-def: $vgpr23
                                        ; implicit-def: $vgpr19
                                        ; implicit-def: $vgpr25
                                        ; implicit-def: $vgpr21
                                        ; implicit-def: $vgpr35
                                        ; implicit-def: $vgpr31
                                        ; implicit-def: $vgpr37
                                        ; implicit-def: $vgpr33
                                        ; implicit-def: $vgpr104
                                        ; implicit-def: $vgpr27
                                        ; implicit-def: $vgpr105
                                        ; implicit-def: $vgpr38
                                        ; implicit-def: $vgpr39
                                        ; implicit-def: $vgpr40
                                        ; implicit-def: $vgpr41
.LBB0_9:
	v_cmp_le_u64_e32 vcc, s[10:11], v[28:29]
                                        ; implicit-def: $vgpr104
                                        ; implicit-def: $vgpr27
                                        ; implicit-def: $vgpr105
                                        ; implicit-def: $vgpr38
                                        ; implicit-def: $vgpr39
                                        ; implicit-def: $vgpr40
                                        ; implicit-def: $vgpr41
	s_and_saveexec_b64 s[2:3], vcc
	s_xor_b64 s[2:3], exec, s[2:3]
; %bb.10:
	v_add_u32_e32 v104, 5, v1
	v_add_u32_e32 v27, 10, v1
	v_add_u32_e32 v105, 15, v1
	v_add_u32_e32 v38, 20, v1
	v_add_u32_e32 v39, 25, v1
	v_add_u32_e32 v40, 30, v1
	v_add_u32_e32 v41, 35, v1
                                        ; implicit-def: $vgpr42
                                        ; implicit-def: $vgpr43
                                        ; implicit-def: $vgpr44
                                        ; implicit-def: $vgpr45
                                        ; implicit-def: $vgpr46
                                        ; implicit-def: $vgpr47
                                        ; implicit-def: $vgpr48
; %bb.11:
	s_or_saveexec_b64 s[2:3], s[2:3]
                                        ; implicit-def: $vgpr7
                                        ; implicit-def: $vgpr3
                                        ; implicit-def: $vgpr9
                                        ; implicit-def: $vgpr5
                                        ; implicit-def: $vgpr15
                                        ; implicit-def: $vgpr11
                                        ; implicit-def: $vgpr17
                                        ; implicit-def: $vgpr13
                                        ; implicit-def: $vgpr23
                                        ; implicit-def: $vgpr19
                                        ; implicit-def: $vgpr25
                                        ; implicit-def: $vgpr21
                                        ; implicit-def: $vgpr35
                                        ; implicit-def: $vgpr31
                                        ; implicit-def: $vgpr37
                                        ; implicit-def: $vgpr33
	s_xor_b64 exec, exec, s[2:3]
	s_cbranch_execz .LBB0_13
; %bb.12:
	s_waitcnt vmcnt(15)
	v_mad_u64_u32 v[2:3], s[18:19], s12, v26, 0
	s_waitcnt vmcnt(13)
	v_mov_b32_e32 v4, v3
	v_mad_u64_u32 v[4:5], s[18:19], s13, v26, v[4:5]
	v_mov_b32_e32 v3, v4
	v_mad_u64_u32 v[4:5], s[18:19], s8, v1, 0
	;; [unrolled: 2-line block ×3, first 2 shown]
	s_lshl_b64 s[18:19], s[6:7], 3
	s_add_u32 s18, s14, s18
	s_addc_u32 s19, s15, s19
	v_mov_b32_e32 v5, v6
	s_waitcnt vmcnt(3)
	v_lshl_add_u64 v[30:31], v[2:3], 3, s[18:19]
	v_lshl_add_u64 v[10:11], v[4:5], 3, v[30:31]
	v_or_b32_e32 v5, 40, v1
	v_mad_u64_u32 v[2:3], s[18:19], s8, v5, 0
	v_mov_b32_e32 v4, v3
	v_mad_u64_u32 v[4:5], s[18:19], s9, v5, v[4:5]
	v_mov_b32_e32 v3, v4
	v_lshl_add_u64 v[12:13], v[2:3], 3, v[30:31]
	v_mad_u64_u32 v[2:3], s[18:19], s8, v42, 0
	v_mov_b32_e32 v4, v3
	v_mad_u64_u32 v[4:5], s[18:19], s9, v42, v[4:5]
	v_mov_b32_e32 v3, v4
	v_add_u32_e32 v5, 45, v1
	v_lshl_add_u64 v[14:15], v[2:3], 3, v[30:31]
	v_mad_u64_u32 v[2:3], s[18:19], s8, v5, 0
	v_mov_b32_e32 v4, v3
	v_mad_u64_u32 v[4:5], s[18:19], s9, v5, v[4:5]
	v_mov_b32_e32 v3, v4
	v_lshl_add_u64 v[16:17], v[2:3], 3, v[30:31]
	global_load_dwordx2 v[2:3], v[10:11], off
	global_load_dwordx2 v[6:7], v[12:13], off
	;; [unrolled: 1-line block ×4, first 2 shown]
	v_mad_u64_u32 v[10:11], s[18:19], s8, v43, 0
	v_mov_b32_e32 v12, v11
	v_mad_u64_u32 v[12:13], s[18:19], s9, v43, v[12:13]
	v_mov_b32_e32 v11, v12
	v_add_u32_e32 v13, 50, v1
	v_lshl_add_u64 v[18:19], v[10:11], 3, v[30:31]
	v_mad_u64_u32 v[10:11], s[18:19], s8, v13, 0
	v_mov_b32_e32 v12, v11
	v_mad_u64_u32 v[12:13], s[18:19], s9, v13, v[12:13]
	v_mov_b32_e32 v11, v12
	v_lshl_add_u64 v[20:21], v[10:11], 3, v[30:31]
	v_mad_u64_u32 v[10:11], s[18:19], s8, v44, 0
	v_mov_b32_e32 v12, v11
	v_mad_u64_u32 v[12:13], s[18:19], s9, v44, v[12:13]
	v_mov_b32_e32 v11, v12
	v_add_u32_e32 v13, 55, v1
	v_lshl_add_u64 v[22:23], v[10:11], 3, v[30:31]
	v_mad_u64_u32 v[10:11], s[18:19], s8, v13, 0
	v_mov_b32_e32 v12, v11
	v_mad_u64_u32 v[12:13], s[18:19], s9, v13, v[12:13]
	v_mov_b32_e32 v11, v12
	v_lshl_add_u64 v[24:25], v[10:11], 3, v[30:31]
	global_load_dwordx2 v[10:11], v[18:19], off
	global_load_dwordx2 v[14:15], v[20:21], off
	;; [unrolled: 1-line block ×4, first 2 shown]
	v_mad_u64_u32 v[18:19], s[18:19], s8, v45, 0
	v_mov_b32_e32 v20, v19
	v_mad_u64_u32 v[20:21], s[18:19], s9, v45, v[20:21]
	v_mov_b32_e32 v19, v20
	v_add_u32_e32 v21, 60, v1
	s_waitcnt vmcnt(9)
	v_lshl_add_u64 v[32:33], v[18:19], 3, v[30:31]
	v_mad_u64_u32 v[18:19], s[18:19], s8, v21, 0
	v_mov_b32_e32 v20, v19
	v_mad_u64_u32 v[20:21], s[18:19], s9, v21, v[20:21]
	v_mov_b32_e32 v19, v20
	v_lshl_add_u64 v[34:35], v[18:19], 3, v[30:31]
	v_mad_u64_u32 v[18:19], s[18:19], s8, v46, 0
	v_mov_b32_e32 v20, v19
	v_mad_u64_u32 v[20:21], s[18:19], s9, v46, v[20:21]
	v_mov_b32_e32 v19, v20
	v_add_u32_e32 v21, 0x41, v1
	s_waitcnt vmcnt(8)
	v_lshl_add_u64 v[36:37], v[18:19], 3, v[30:31]
	v_mad_u64_u32 v[18:19], s[18:19], s8, v21, 0
	v_mov_b32_e32 v20, v19
	v_mad_u64_u32 v[20:21], s[18:19], s9, v21, v[20:21]
	v_mov_b32_e32 v19, v20
	v_lshl_add_u64 v[38:39], v[18:19], 3, v[30:31]
	global_load_dwordx2 v[18:19], v[32:33], off
	global_load_dwordx2 v[22:23], v[34:35], off
	;; [unrolled: 1-line block ×4, first 2 shown]
	v_mad_u64_u32 v[32:33], s[18:19], s8, v47, 0
	v_mov_b32_e32 v34, v33
	v_mad_u64_u32 v[34:35], s[18:19], s9, v47, v[34:35]
	v_mov_b32_e32 v33, v34
	v_add_u32_e32 v27, 0x46, v1
	v_lshl_add_u64 v[38:39], v[32:33], 3, v[30:31]
	v_mad_u64_u32 v[32:33], s[18:19], s8, v27, 0
	v_mov_b32_e32 v34, v33
	v_mad_u64_u32 v[34:35], s[18:19], s9, v27, v[34:35]
	v_mov_b32_e32 v33, v34
	v_lshl_add_u64 v[40:41], v[32:33], 3, v[30:31]
	v_mad_u64_u32 v[32:33], s[18:19], s8, v48, 0
	v_mov_b32_e32 v34, v33
	v_mad_u64_u32 v[34:35], s[18:19], s9, v48, v[34:35]
	v_mov_b32_e32 v33, v34
	v_add_u32_e32 v27, 0x4b, v1
	v_lshl_add_u64 v[50:51], v[32:33], 3, v[30:31]
	v_mad_u64_u32 v[32:33], s[18:19], s8, v27, 0
	v_mov_b32_e32 v34, v33
	v_mad_u64_u32 v[34:35], s[18:19], s9, v27, v[34:35]
	v_mov_b32_e32 v33, v34
	v_lshl_add_u64 v[52:53], v[32:33], 3, v[30:31]
	global_load_dwordx2 v[30:31], v[38:39], off
	global_load_dwordx2 v[34:35], v[40:41], off
	;; [unrolled: 1-line block ×4, first 2 shown]
	v_mov_b32_e32 v104, v42
	v_mov_b32_e32 v27, v43
	;; [unrolled: 1-line block ×7, first 2 shown]
.LBB0_13:
	s_or_b64 exec, exec, s[2:3]
.LBB0_14:
	s_waitcnt vmcnt(14)
	v_pk_add_f32 v[42:43], v[2:3], v[6:7] neg_lo:[0,1] neg_hi:[0,1]
	v_mul_u32_u24_e32 v7, 0x260, v1
	v_lshlrev_b32_e32 v6, 3, v26
	v_add3_u32 v7, 0, v7, v6
	v_pk_fma_f32 v[2:3], v[2:3], 2.0, v[42:43] op_sel_hi:[1,0,1] neg_lo:[0,0,1] neg_hi:[0,0,1]
	s_waitcnt vmcnt(12)
	v_pk_add_f32 v[8:9], v[4:5], v[8:9] neg_lo:[0,1] neg_hi:[0,1]
	ds_write2_b64 v7, v[2:3], v[42:43] offset1:38
	v_mul_i32_i24_e32 v2, 0x260, v104
	v_add3_u32 v7, 0, v2, v6
	v_pk_fma_f32 v[2:3], v[4:5], 2.0, v[8:9] op_sel_hi:[1,0,1] neg_lo:[0,0,1] neg_hi:[0,0,1]
	s_waitcnt vmcnt(10)
	v_pk_add_f32 v[14:15], v[10:11], v[14:15] neg_lo:[0,1] neg_hi:[0,1]
	ds_write2_b64 v7, v[2:3], v[8:9] offset1:38
	v_mul_i32_i24_e32 v2, 0x260, v27
	;; [unrolled: 6-line block ×7, first 2 shown]
	v_add3_u32 v4, 0, v2, v6
	v_pk_fma_f32 v[2:3], v[32:33], 2.0, v[36:37] op_sel_hi:[1,0,1] neg_lo:[0,0,1] neg_hi:[0,0,1]
	v_and_b32_e32 v7, 1, v41
	ds_write2_b64 v4, v[2:3], v[36:37] offset1:38
	v_lshlrev_b32_e32 v2, 3, v7
	s_waitcnt lgkmcnt(0)
	s_barrier
	global_load_dwordx2 v[16:17], v2, s[16:17]
	v_and_b32_e32 v35, 1, v39
	v_lshlrev_b32_e32 v2, 3, v35
	global_load_dwordx2 v[18:19], v2, s[16:17]
	v_and_b32_e32 v43, 1, v1
	v_lshlrev_b32_e32 v2, 3, v43
	;; [unrolled: 3-line block ×4, first 2 shown]
	global_load_dwordx2 v[24:25], v2, s[16:17]
	v_mul_u32_u24_e32 v2, 0x130, v1
	v_mul_i32_i24_e32 v3, 0x130, v104
	v_mul_i32_i24_e32 v5, 0x130, v105
	;; [unrolled: 1-line block ×3, first 2 shown]
	v_add3_u32 v34, 0, v2, v6
	v_add3_u32 v42, 0, v3, v6
	v_mul_i32_i24_e32 v4, 0x130, v27
	v_mul_i32_i24_e32 v9, 0x130, v39
	v_add3_u32 v36, 0, v5, v6
	v_add3_u32 v56, 0, v8, v6
	v_add_u32_e32 v2, 0x2e00, v34
	v_add_u32_e32 v8, 0x3a00, v34
	ds_read_b64 v[30:31], v42
	ds_read_b64 v[32:33], v34 offset:22800
	ds_read_b64 v[44:45], v34
	ds_read_b64 v[46:47], v36
	v_add_u32_e32 v12, 0x4400, v34
	v_add_u32_e32 v58, 0x4c00, v34
	v_add3_u32 v37, 0, v4, v6
	v_add3_u32 v57, 0, v9, v6
	ds_read2_b64 v[2:5], v2 offset0:48 offset1:238
	ds_read2_b64 v[8:11], v8 offset0:44 offset1:234
	ds_read2_b32 v[48:49], v12 offset0:208 offset1:209
	ds_read2_b64 v[12:15], v58 offset0:38 offset1:228
	s_movk_i32 s2, 0x1ffc
	v_lshlrev_b32_e32 v107, 2, v104
	v_lshlrev_b32_e32 v106, 2, v27
	s_waitcnt vmcnt(4) lgkmcnt(6)
	v_pk_mul_f32 v[50:51], v[32:33], v[16:17] op_sel:[0,1]
	s_nop 0
	v_pk_fma_f32 v[52:53], v[32:33], v[16:17], v[50:51] op_sel:[0,0,1] op_sel_hi:[1,1,0]
	v_pk_fma_f32 v[16:17], v[32:33], v[16:17], v[50:51] op_sel:[0,0,1] op_sel_hi:[1,0,0] neg_lo:[0,0,1] neg_hi:[0,0,1]
	s_nop 0
	v_mul_i32_i24_e32 v16, 0x130, v40
	v_add3_u32 v50, 0, v16, v6
	v_mov_b32_e32 v53, v17
	s_waitcnt vmcnt(3) lgkmcnt(0)
	v_pk_mul_f32 v[16:17], v[12:13], v[18:19] op_sel:[0,1]
	s_nop 0
	v_pk_fma_f32 v[32:33], v[12:13], v[18:19], v[16:17] op_sel:[0,0,1] op_sel_hi:[1,1,0]
	v_pk_fma_f32 v[12:13], v[12:13], v[18:19], v[16:17] op_sel:[0,0,1] op_sel_hi:[1,0,0] neg_lo:[0,0,1] neg_hi:[0,0,1]
	s_nop 0
	v_mov_b32_e32 v12, v49
	v_mov_b32_e32 v33, v13
	s_waitcnt vmcnt(2)
	v_pk_mul_f32 v[12:13], v[12:13], v[20:21] op_sel_hi:[0,1]
	v_pk_fma_f32 v[16:17], v[20:21], v[48:49], v[12:13] op_sel:[0,0,1] op_sel_hi:[1,1,0]
	v_pk_fma_f32 v[12:13], v[20:21], v[48:49], v[12:13] op_sel:[0,0,1] op_sel_hi:[1,0,0] neg_lo:[1,0,0] neg_hi:[1,0,0]
	s_nop 0
	v_mov_b32_e32 v17, v13
	v_pk_mul_f32 v[12:13], v[14:15], v[20:21] op_sel:[0,1]
	s_nop 0
	v_pk_fma_f32 v[18:19], v[14:15], v[20:21], v[12:13] op_sel:[0,0,1] op_sel_hi:[1,1,0]
	v_pk_fma_f32 v[12:13], v[14:15], v[20:21], v[12:13] op_sel:[0,0,1] op_sel_hi:[1,0,0] neg_lo:[0,0,1] neg_hi:[0,0,1]
	s_nop 0
	v_mov_b32_e32 v19, v13
	s_waitcnt vmcnt(1)
	v_pk_mul_f32 v[12:13], v[22:23], v[10:11] op_sel:[0,1]
	s_nop 0
	v_pk_fma_f32 v[14:15], v[22:23], v[10:11], v[12:13] op_sel:[0,0,1] op_sel_hi:[1,1,0]
	v_pk_fma_f32 v[10:11], v[22:23], v[10:11], v[12:13] op_sel:[0,0,1] op_sel_hi:[1,0,0] neg_lo:[1,0,0] neg_hi:[1,0,0]
	s_nop 0
	v_mov_b32_e32 v15, v11
	v_pk_mul_f32 v[10:11], v[20:21], v[8:9] op_sel:[0,1]
	v_pk_add_f32 v[14:15], v[46:47], v[14:15] neg_lo:[0,1] neg_hi:[0,1]
	v_pk_fma_f32 v[12:13], v[20:21], v[8:9], v[10:11] op_sel:[0,0,1] op_sel_hi:[1,1,0]
	v_pk_fma_f32 v[8:9], v[20:21], v[8:9], v[10:11] op_sel:[0,0,1] op_sel_hi:[1,0,0] neg_lo:[1,0,0] neg_hi:[1,0,0]
	s_waitcnt vmcnt(0)
	v_pk_mul_f32 v[10:11], v[24:25], v[4:5] op_sel:[0,1]
	v_lshlrev_b32_e32 v13, 1, v39
	v_pk_fma_f32 v[22:23], v[24:25], v[4:5], v[10:11] op_sel:[0,0,1] op_sel_hi:[1,1,0]
	v_pk_fma_f32 v[4:5], v[24:25], v[4:5], v[10:11] op_sel:[0,0,1] op_sel_hi:[1,0,0] neg_lo:[1,0,0] neg_hi:[1,0,0]
	v_pk_mul_f32 v[10:11], v[20:21], v[2:3] op_sel:[0,1]
	v_lshlrev_b32_e32 v23, 1, v27
	v_pk_fma_f32 v[24:25], v[20:21], v[2:3], v[10:11] op_sel:[0,0,1] op_sel_hi:[1,1,0]
	v_pk_fma_f32 v[2:3], v[20:21], v[2:3], v[10:11] op_sel:[0,0,1] op_sel_hi:[1,0,0] neg_lo:[1,0,0] neg_hi:[1,0,0]
	v_lshlrev_b32_e32 v4, 1, v105
	v_lshlrev_b32_e32 v2, 1, v104
	v_and_or_b32 v2, v2, s2, v55
	v_and_or_b32 v23, v23, s2, v43
	v_mul_u32_u24_e32 v2, 0x130, v2
	v_and_or_b32 v4, v4, s2, v54
	v_lshlrev_b32_e32 v25, 1, v38
	v_mul_i32_i24_e32 v38, 0x130, v41
	v_add3_u32 v54, 0, v2, v6
	v_mul_u32_u24_e32 v2, 0x130, v23
	v_and_or_b32 v25, v25, s2, v43
	v_add3_u32 v38, 0, v38, v6
	v_lshlrev_b32_e32 v39, 1, v41
	v_add3_u32 v55, 0, v2, v6
	v_mul_u32_u24_e32 v2, 0x130, v4
	ds_read_b64 v[10:11], v37
	ds_read_b64 v[20:21], v56
	;; [unrolled: 1-line block ×4, first 2 shown]
	v_and_or_b32 v13, v13, s2, v35
	v_lshlrev_b32_e32 v35, 1, v40
	v_and_or_b32 v7, v39, s2, v7
	ds_read_b64 v[38:39], v38
	v_add3_u32 v57, 0, v2, v6
	v_mul_u32_u24_e32 v2, 0x130, v25
	v_and_or_b32 v35, v35, s2, v43
	v_add3_u32 v59, 0, v2, v6
	v_mul_u32_u24_e32 v2, 0x130, v13
	v_lshlrev_b32_e32 v8, 1, v1
	v_add3_u32 v60, 0, v2, v6
	v_mul_u32_u24_e32 v2, 0x130, v35
	v_and_or_b32 v8, v8, 12, v43
	v_add3_u32 v35, 0, v2, v6
	v_mul_u32_u24_e32 v2, 0x130, v7
	v_mov_b32_e32 v25, v3
	v_mul_u32_u24_e32 v8, 0x130, v8
	v_add3_u32 v7, 0, v2, v6
	v_mov_b32_e32 v13, v9
	v_mov_b32_e32 v23, v5
	v_pk_add_f32 v[2:3], v[44:45], v[24:25] neg_lo:[0,1] neg_hi:[0,1]
	v_add3_u32 v43, 0, v8, v6
	s_waitcnt lgkmcnt(0)
	v_pk_add_f32 v[40:41], v[38:39], v[52:53] neg_lo:[0,1] neg_hi:[0,1]
	v_pk_add_f32 v[32:33], v[48:49], v[32:33] neg_lo:[0,1] neg_hi:[0,1]
	;; [unrolled: 1-line block ×6, first 2 shown]
	v_pk_fma_f32 v[22:23], v[44:45], 2.0, v[2:3] op_sel_hi:[1,0,1] neg_lo:[0,0,1] neg_hi:[0,0,1]
	v_pk_fma_f32 v[38:39], v[38:39], 2.0, v[40:41] op_sel_hi:[1,0,1] neg_lo:[0,0,1] neg_hi:[0,0,1]
	;; [unrolled: 1-line block ×8, first 2 shown]
	s_barrier
	ds_write2_b64 v43, v[22:23], v[2:3] offset1:76
	ds_write2_b64 v54, v[12:13], v[4:5] offset1:76
	;; [unrolled: 1-line block ×8, first 2 shown]
	v_and_b32_e32 v7, 3, v27
	v_mul_u32_u24_e32 v2, 3, v7
	v_lshlrev_b32_e32 v12, 3, v2
	s_waitcnt lgkmcnt(0)
	s_barrier
	global_load_dwordx4 v[2:5], v12, s[16:17] offset:16
	v_and_b32_e32 v35, 3, v104
	v_mul_u32_u24_e32 v8, 3, v35
	v_lshlrev_b32_e32 v13, 3, v8
	global_load_dwordx4 v[8:11], v13, s[16:17] offset:16
	global_load_dwordx2 v[24:25], v12, s[16:17] offset:32
	global_load_dwordx2 v[48:49], v13, s[16:17] offset:32
	v_and_b32_e32 v12, 3, v1
	v_mul_u32_u24_e32 v12, 3, v12
	v_lshlrev_b32_e32 v20, 3, v12
	global_load_dwordx4 v[12:15], v20, s[16:17] offset:16
	v_and_b32_e32 v43, 3, v105
	v_mul_u32_u24_e32 v16, 3, v43
	v_lshlrev_b32_e32 v21, 3, v16
	global_load_dwordx4 v[16:19], v21, s[16:17] offset:16
	global_load_dwordx2 v[50:51], v20, s[16:17] offset:32
	global_load_dwordx2 v[52:53], v21, s[16:17] offset:32
	v_add_u32_e32 v20, 0x2800, v34
	v_add_u32_e32 v30, 0x1c00, v34
	ds_read2_b64 v[20:23], v20 offset0:50 offset1:240
	ds_read2_b64 v[30:33], v30 offset0:54 offset1:244
	ds_read_b64 v[54:55], v56
	ds_read_b64 v[56:57], v37
	v_add_u32_e32 v38, 0x3400, v34
	ds_read2_b64 v[38:41], v38 offset0:46 offset1:236
	ds_read2_b64 v[44:47], v58 offset0:38 offset1:228
	ds_read_b64 v[66:67], v34 offset:22800
	s_movk_i32 s2, 0x3ff0
	s_waitcnt vmcnt(7) lgkmcnt(5)
	v_pk_mul_f32 v[58:59], v[32:33], v[2:3] op_sel:[0,1]
	s_nop 0
	v_pk_fma_f32 v[60:61], v[32:33], v[2:3], v[58:59] op_sel:[0,0,1] op_sel_hi:[1,1,0]
	v_pk_fma_f32 v[32:33], v[32:33], v[2:3], v[58:59] op_sel:[0,0,1] op_sel_hi:[1,0,0] neg_lo:[0,0,1] neg_hi:[0,0,1]
	v_mov_b32_e32 v2, v5
	s_waitcnt lgkmcnt(2)
	v_pk_mul_f32 v[2:3], v[40:41], v[2:3] op_sel_hi:[1,0]
	v_mov_b32_e32 v61, v33
	v_pk_fma_f32 v[58:59], v[40:41], v[4:5], v[2:3] op_sel:[0,0,1] op_sel_hi:[1,1,0]
	v_pk_fma_f32 v[40:41], v[40:41], v[4:5], v[2:3] op_sel:[0,0,1] op_sel_hi:[1,0,0] neg_lo:[0,0,1] neg_hi:[0,0,1]
	s_waitcnt vmcnt(6)
	v_pk_mul_f32 v[2:3], v[8:9], v[30:31] op_sel:[0,1]
	v_mov_b32_e32 v59, v41
	v_pk_fma_f32 v[62:63], v[8:9], v[30:31], v[2:3] op_sel:[0,0,1] op_sel_hi:[1,1,0]
	v_pk_fma_f32 v[8:9], v[8:9], v[30:31], v[2:3] op_sel:[0,0,1] op_sel_hi:[1,0,0] neg_lo:[1,0,0] neg_hi:[1,0,0]
	v_mov_b32_e32 v2, v11
	v_pk_mul_f32 v[2:3], v[38:39], v[2:3] op_sel_hi:[1,0]
	v_mov_b32_e32 v8, v21
	v_pk_fma_f32 v[64:65], v[38:39], v[10:11], v[2:3] op_sel:[0,0,1] op_sel_hi:[1,1,0]
	v_pk_fma_f32 v[10:11], v[38:39], v[10:11], v[2:3] op_sel:[0,0,1] op_sel_hi:[1,0,0] neg_lo:[0,0,1] neg_hi:[0,0,1]
	s_waitcnt vmcnt(5) lgkmcnt(1)
	v_pk_mul_f32 v[2:3], v[46:47], v[24:25] op_sel:[0,1]
	v_mov_b32_e32 v63, v9
	v_pk_fma_f32 v[38:39], v[46:47], v[24:25], v[2:3] op_sel:[0,0,1] op_sel_hi:[1,1,0]
	v_pk_fma_f32 v[24:25], v[46:47], v[24:25], v[2:3] op_sel:[0,0,1] op_sel_hi:[1,0,0] neg_lo:[0,0,1] neg_hi:[0,0,1]
	s_waitcnt vmcnt(4)
	v_pk_mul_f32 v[2:3], v[44:45], v[48:49] op_sel:[0,1]
	v_mov_b32_e32 v65, v11
	v_pk_fma_f32 v[46:47], v[44:45], v[48:49], v[2:3] op_sel:[0,0,1] op_sel_hi:[1,1,0]
	v_pk_fma_f32 v[44:45], v[44:45], v[48:49], v[2:3] op_sel:[0,0,1] op_sel_hi:[1,0,0] neg_lo:[0,0,1] neg_hi:[0,0,1]
	s_waitcnt vmcnt(3)
	v_pk_mul_f32 v[2:3], v[12:13], v[54:55] op_sel:[0,1]
	v_mov_b32_e32 v47, v45
	v_pk_fma_f32 v[48:49], v[12:13], v[54:55], v[2:3] op_sel:[0,0,1] op_sel_hi:[1,1,0]
	v_pk_fma_f32 v[12:13], v[12:13], v[54:55], v[2:3] op_sel:[0,0,1] op_sel_hi:[1,0,0] neg_lo:[1,0,0] neg_hi:[1,0,0]
	v_pk_mul_f32 v[2:3], v[14:15], v[22:23] op_sel:[0,1]
	v_mov_b32_e32 v49, v13
	v_pk_fma_f32 v[54:55], v[14:15], v[22:23], v[2:3] op_sel:[0,0,1] op_sel_hi:[1,1,0]
	v_pk_fma_f32 v[14:15], v[14:15], v[22:23], v[2:3] op_sel:[0,0,1] op_sel_hi:[1,0,0] neg_lo:[1,0,0] neg_hi:[1,0,0]
	v_add_u32_e32 v2, 0x4000, v34
	ds_read2_b64 v[2:5], v2 offset0:42 offset1:232
	s_waitcnt vmcnt(2)
	v_pk_mul_f32 v[22:23], v[20:21], v[16:17] op_sel:[0,1] op_sel_hi:[0,0]
	v_pk_fma_f32 v[20:21], v[20:21], v[16:17], v[22:23] op_sel:[1,0,0]
	v_pk_fma_f32 v[16:17], v[8:9], v[16:17], v[22:23] neg_lo:[0,0,1] neg_hi:[0,0,1]
	v_mov_b32_e32 v8, v19
	s_waitcnt lgkmcnt(0)
	v_pk_mul_f32 v[22:23], v[2:3], v[8:9] op_sel_hi:[1,0]
	v_mov_b32_e32 v17, v21
	v_pk_fma_f32 v[30:31], v[2:3], v[18:19], v[22:23] op_sel:[0,0,1] op_sel_hi:[1,1,0]
	v_pk_fma_f32 v[2:3], v[2:3], v[18:19], v[22:23] op_sel:[0,0,1] op_sel_hi:[1,0,0] neg_lo:[0,0,1] neg_hi:[0,0,1]
	s_waitcnt vmcnt(1)
	v_pk_mul_f32 v[18:19], v[50:51], v[4:5] op_sel:[0,1]
	v_mov_b32_e32 v2, v67
	v_pk_fma_f32 v[22:23], v[50:51], v[4:5], v[18:19] op_sel:[0,0,1] op_sel_hi:[1,1,0]
	v_pk_fma_f32 v[4:5], v[50:51], v[4:5], v[18:19] op_sel:[0,0,1] op_sel_hi:[1,0,0] neg_lo:[1,0,0] neg_hi:[1,0,0]
	ds_read_b64 v[18:19], v36
	ds_read_b64 v[68:69], v42
	;; [unrolled: 1-line block ×3, first 2 shown]
	s_waitcnt vmcnt(0)
	v_pk_mul_f32 v[50:51], v[66:67], v[52:53] op_sel:[0,1] op_sel_hi:[0,0]
	v_pk_fma_f32 v[72:73], v[2:3], v[52:53], v[50:51] neg_lo:[0,0,1] neg_hi:[0,0,1]
	v_pk_fma_f32 v[50:51], v[66:67], v[52:53], v[50:51] op_sel:[1,0,0]
	v_mov_b32_e32 v31, v3
	v_mov_b32_e32 v73, v51
	s_waitcnt lgkmcnt(2)
	v_pk_add_f32 v[2:3], v[18:19], v[30:31] neg_lo:[0,1] neg_hi:[0,1]
	v_pk_add_f32 v[20:21], v[16:17], v[72:73] neg_lo:[0,1] neg_hi:[0,1]
	v_lshlrev_b32_e32 v51, 2, v105
	v_pk_add_f32 v[32:33], v[2:3], v[20:21] neg_lo:[0,1] neg_hi:[0,1]
	v_mov_b32_e32 v55, v15
	v_lshlrev_b32_e32 v32, 2, v1
	v_bitop3_b32 v4, v32, 19, v1 bitop3:0xc8
	v_mul_u32_u24_e32 v4, 0x130, v4
	v_add3_u32 v50, 0, v4, v6
	v_and_or_b32 v4, v107, s2, v35
	v_mul_u32_u24_e32 v4, 0x130, v4
	v_add3_u32 v35, 0, v4, v6
	v_and_or_b32 v4, v106, s2, v7
	;; [unrolled: 3-line block ×3, first 2 shown]
	v_mul_u32_u24_e32 v4, 0x130, v4
	v_mov_b32_e32 v23, v5
	v_add3_u32 v43, 0, v4, v6
	s_waitcnt lgkmcnt(0)
	v_pk_add_f32 v[4:5], v[70:71], v[54:55] neg_lo:[0,1] neg_hi:[0,1]
	v_pk_add_f32 v[14:15], v[48:49], v[22:23] neg_lo:[0,1] neg_hi:[0,1]
	;; [unrolled: 1-line block ×3, first 2 shown]
	v_pk_fma_f32 v[12:13], v[70:71], 2.0, v[4:5] op_sel_hi:[1,0,1] neg_lo:[0,0,1] neg_hi:[0,0,1]
	v_pk_fma_f32 v[22:23], v[48:49], 2.0, v[14:15] op_sel_hi:[1,0,1] neg_lo:[0,0,1] neg_hi:[0,0,1]
	v_pk_add_f32 v[46:47], v[4:5], v[14:15] op_sel:[0,1] op_sel_hi:[1,0]
	v_pk_add_f32 v[14:15], v[4:5], v[14:15] op_sel:[0,1] op_sel_hi:[1,0] neg_lo:[0,1] neg_hi:[0,1]
	v_pk_add_f32 v[22:23], v[12:13], v[22:23] neg_lo:[0,1] neg_hi:[0,1]
	v_mov_b32_e32 v47, v15
	v_pk_fma_f32 v[12:13], v[12:13], 2.0, v[22:23] op_sel_hi:[1,0,1] neg_lo:[0,0,1] neg_hi:[0,0,1]
	v_pk_fma_f32 v[4:5], v[4:5], 2.0, v[46:47] op_sel_hi:[1,0,1] neg_lo:[0,0,1] neg_hi:[0,0,1]
	v_mov_b32_e32 v39, v25
	v_pk_add_f32 v[24:25], v[68:69], v[64:65] neg_lo:[0,1] neg_hi:[0,1]
	s_barrier
	ds_write2_b64 v50, v[12:13], v[4:5] offset1:152
	v_add_u32_e32 v4, 0x800, v50
	v_pk_fma_f32 v[6:7], v[18:19], 2.0, v[2:3] op_sel_hi:[1,0,1] neg_lo:[0,0,1] neg_hi:[0,0,1]
	v_pk_add_f32 v[18:19], v[60:61], v[38:39] neg_lo:[0,1] neg_hi:[0,1]
	v_pk_fma_f32 v[38:39], v[68:69], 2.0, v[24:25] op_sel_hi:[1,0,1] neg_lo:[0,0,1] neg_hi:[0,0,1]
	v_pk_fma_f32 v[44:45], v[62:63], 2.0, v[40:41] op_sel_hi:[1,0,1] neg_lo:[0,0,1] neg_hi:[0,0,1]
	ds_write2_b64 v4, v[22:23], v[46:47] offset0:48 offset1:200
	v_pk_add_f32 v[4:5], v[24:25], v[40:41] op_sel:[0,1] op_sel_hi:[1,0]
	v_pk_add_f32 v[12:13], v[24:25], v[40:41] op_sel:[0,1] op_sel_hi:[1,0] neg_lo:[0,1] neg_hi:[0,1]
	v_pk_add_f32 v[44:45], v[38:39], v[44:45] neg_lo:[0,1] neg_hi:[0,1]
	v_mov_b32_e32 v5, v13
	v_pk_fma_f32 v[38:39], v[38:39], 2.0, v[44:45] op_sel_hi:[1,0,1] neg_lo:[0,0,1] neg_hi:[0,0,1]
	v_pk_fma_f32 v[12:13], v[24:25], 2.0, v[4:5] op_sel_hi:[1,0,1] neg_lo:[0,0,1] neg_hi:[0,0,1]
	v_pk_add_f32 v[10:11], v[56:57], v[58:59] neg_lo:[0,1] neg_hi:[0,1]
	ds_write2_b64 v35, v[38:39], v[12:13] offset1:152
	v_add_u32_e32 v12, 0x800, v35
	v_pk_add_f32 v[30:31], v[2:3], v[20:21]
	v_pk_fma_f32 v[8:9], v[16:17], 2.0, v[20:21] op_sel_hi:[1,0,1] neg_lo:[0,0,1] neg_hi:[0,0,1]
	v_pk_fma_f32 v[16:17], v[56:57], 2.0, v[10:11] op_sel_hi:[1,0,1] neg_lo:[0,0,1] neg_hi:[0,0,1]
	;; [unrolled: 1-line block ×3, first 2 shown]
	ds_write2_b64 v12, v[44:45], v[4:5] offset0:48 offset1:200
	v_pk_add_f32 v[4:5], v[10:11], v[18:19] op_sel:[0,1] op_sel_hi:[1,0]
	v_pk_add_f32 v[12:13], v[10:11], v[18:19] op_sel:[0,1] op_sel_hi:[1,0] neg_lo:[0,1] neg_hi:[0,1]
	v_pk_add_f32 v[20:21], v[16:17], v[20:21] neg_lo:[0,1] neg_hi:[0,1]
	v_mov_b32_e32 v5, v13
	v_mov_b32_e32 v31, v33
	v_pk_add_f32 v[8:9], v[6:7], v[8:9] op_sel:[0,1] op_sel_hi:[1,0] neg_lo:[0,1] neg_hi:[0,1]
	v_pk_fma_f32 v[16:17], v[16:17], 2.0, v[20:21] op_sel_hi:[1,0,1] neg_lo:[0,0,1] neg_hi:[0,0,1]
	v_pk_fma_f32 v[10:11], v[10:11], 2.0, v[4:5] op_sel_hi:[1,0,1] neg_lo:[0,0,1] neg_hi:[0,0,1]
	;; [unrolled: 1-line block ×3, first 2 shown]
	ds_write2_b64 v52, v[16:17], v[10:11] offset1:152
	v_add_u32_e32 v10, 0x800, v52
	v_pk_fma_f32 v[2:3], v[2:3], 2.0, v[30:31] op_sel_hi:[1,0,1] neg_lo:[0,0,1] neg_hi:[0,0,1]
	ds_write2_b64 v10, v[20:21], v[4:5] offset0:48 offset1:200
	ds_write2_b64 v43, v[6:7], v[2:3] offset1:152
	v_add_u32_e32 v2, 0x800, v43
	ds_write2_b64 v2, v[8:9], v[30:31] offset0:48 offset1:200
	v_add_u32_e32 v2, 0x1200, v34
	s_waitcnt lgkmcnt(0)
	s_barrier
	ds_read2_b64 v[22:25], v2 offset0:32 offset1:222
	v_add_u32_e32 v2, 0x1e80, v34
	ds_read2_b64 v[6:9], v2 offset0:12 offset1:240
	v_add_u32_e32 v2, 0x3800, v34
	v_add_u32_e32 v10, 0x2a00, v34
	ds_read2_b64 v[18:21], v2 offset0:32 offset1:222
	v_add_u32_e32 v2, 0x4480, v34
	ds_read2_b64 v[14:17], v10 offset0:62 offset1:252
	;; [unrolled: 2-line block ×3, first 2 shown]
	ds_read2_b64 v[10:13], v10 offset0:62 offset1:252
	ds_read_b64 v[34:35], v34
	ds_read_b64 v[40:41], v42
	;; [unrolled: 1-line block ×3, first 2 shown]
	v_cmp_gt_u32_e64 s[2:3], 38, v0
                                        ; implicit-def: $vgpr46
                                        ; implicit-def: $vgpr50
                                        ; implicit-def: $vgpr48
                                        ; implicit-def: $vgpr54
                                        ; implicit-def: $vgpr52
                                        ; implicit-def: $vgpr58
                                        ; implicit-def: $vgpr56
                                        ; implicit-def: $vgpr60
	s_and_saveexec_b64 s[18:19], s[2:3]
	s_cbranch_execz .LBB0_16
; %bb.15:
	v_lshl_add_u32 v33, v26, 3, 0
	ds_read_b64 v[30:31], v36
	ds_read_b64 v[46:47], v33 offset:24016
	ds_read_b64 v[48:49], v33 offset:19152
	;; [unrolled: 1-line block ×4, first 2 shown]
	s_waitcnt lgkmcnt(3)
	v_mov_b32_e32 v50, v47
	s_waitcnt lgkmcnt(2)
	v_mov_b32_e32 v54, v49
	v_mov_b32_e32 v33, v31
	s_waitcnt lgkmcnt(1)
	v_mov_b32_e32 v58, v53
	s_waitcnt lgkmcnt(0)
	v_mov_b32_e32 v60, v57
.LBB0_16:
	s_or_b64 exec, exec, s[18:19]
	s_load_dwordx2 s[22:23], s[0:1], 0x8
	v_mul_lo_u32 v31, v28, v1
	v_mov_b32_e32 v47, 3
	v_lshlrev_b32_sdwa v42, v47, v31 dst_sel:DWORD dst_unused:UNUSED_PAD src0_sel:DWORD src1_sel:BYTE_0
	v_lshlrev_b32_sdwa v43, v47, v31 dst_sel:DWORD dst_unused:UNUSED_PAD src0_sel:DWORD src1_sel:BYTE_1
	s_waitcnt lgkmcnt(0)
	global_load_dwordx2 v[36:37], v42, s[22:23]
	global_load_dwordx2 v[38:39], v43, s[22:23] offset:2048
	v_or_b32_e32 v42, 16, v1
	v_or_b32_e32 v49, 32, v1
	v_mul_lo_u32 v53, v28, v42
	v_mul_lo_u32 v55, v28, v49
	v_lshlrev_b32_sdwa v42, v47, v53 dst_sel:DWORD dst_unused:UNUSED_PAD src0_sel:DWORD src1_sel:BYTE_0
	v_lshlrev_b32_sdwa v44, v47, v53 dst_sel:DWORD dst_unused:UNUSED_PAD src0_sel:DWORD src1_sel:BYTE_1
	v_lshlrev_b32_sdwa v49, v47, v55 dst_sel:DWORD dst_unused:UNUSED_PAD src0_sel:DWORD src1_sel:BYTE_0
	global_load_dwordx2 v[42:43], v42, s[22:23]
	v_lshlrev_b32_sdwa v57, v47, v55 dst_sel:DWORD dst_unused:UNUSED_PAD src0_sel:DWORD src1_sel:BYTE_1
	global_load_dwordx2 v[44:45], v44, s[22:23] offset:2048
	s_nop 0
	global_load_dwordx2 v[64:65], v49, s[22:23]
	global_load_dwordx2 v[66:67], v57, s[22:23] offset:2048
	v_or_b32_e32 v49, 48, v1
	v_mul_lo_u32 v57, v28, v49
	v_lshlrev_b32_sdwa v49, v47, v57 dst_sel:DWORD dst_unused:UNUSED_PAD src0_sel:DWORD src1_sel:BYTE_0
	v_lshlrev_b32_sdwa v59, v47, v57 dst_sel:DWORD dst_unused:UNUSED_PAD src0_sel:DWORD src1_sel:BYTE_1
	global_load_dwordx2 v[74:75], v49, s[22:23]
	global_load_dwordx2 v[76:77], v59, s[22:23] offset:2048
	v_bfe_u32 v31, v31, 16, 8
	v_mov_b32_e32 v49, 0x1000
	v_lshl_or_b32 v31, v31, 3, v49
	global_load_dwordx2 v[68:69], v31, s[22:23]
	v_bfe_u32 v31, v53, 16, 8
	v_lshl_or_b32 v31, v31, 3, v49
	global_load_dwordx2 v[70:71], v31, s[22:23]
	v_bfe_u32 v31, v55, 16, 8
	;; [unrolled: 3-line block ×3, first 2 shown]
	v_lshl_or_b32 v31, v31, 3, v49
	global_load_dwordx2 v[78:79], v31, s[22:23]
	v_or_b32_e32 v31, 64, v1
	v_mul_lo_u32 v31, v28, v31
	v_lshlrev_b32_sdwa v53, v47, v31 dst_sel:DWORD dst_unused:UNUSED_PAD src0_sel:DWORD src1_sel:BYTE_0
	v_lshlrev_b32_sdwa v55, v47, v31 dst_sel:DWORD dst_unused:UNUSED_PAD src0_sel:DWORD src1_sel:BYTE_1
	v_bfe_u32 v31, v31, 16, 8
	global_load_dwordx2 v[80:81], v53, s[22:23]
	global_load_dwordx2 v[82:83], v55, s[22:23] offset:2048
	v_lshl_or_b32 v31, v31, 3, v49
	global_load_dwordx2 v[84:85], v31, s[22:23]
	v_and_b32_e32 v31, 28, v32
	v_lshlrev_b32_e32 v31, 3, v31
	global_load_dwordx4 v[86:89], v31, s[16:17] offset:112
	global_load_dwordx4 v[90:93], v31, s[16:17] offset:128
	v_and_b32_e32 v32, 60, v107
	v_mov_b32_e32 v31, v33
	v_lshlrev_b32_e32 v53, 3, v32
	v_and_b32_e32 v55, 15, v104
	s_mov_b32 s20, 0x3f737871
	v_mul_lo_u32 v57, v28, v55
	s_mov_b32 s18, 0x3f167918
	s_mov_b32 s0, 0x3e9e377a
	v_lshlrev_b32_sdwa v59, v47, v57 dst_sel:DWORD dst_unused:UNUSED_PAD src0_sel:DWORD src1_sel:BYTE_0
	s_andn2_b64 vcc, exec, s[4:5]
	s_waitcnt vmcnt(15)
	v_mul_f32_e32 v61, v36, v38
	v_pk_mul_f32 v[32:33], v[36:37], v[38:39] op_sel:[1,0] op_sel_hi:[0,1]
	v_fma_f32 v39, -v37, v39, v61
	v_add_f32_e32 v33, v32, v33
	s_waitcnt vmcnt(13)
	v_mul_f32_e32 v36, v43, v45
	v_mul_f32_e32 v38, v42, v45
	s_waitcnt vmcnt(11)
	v_mul_f32_e32 v45, v65, v67
	v_mul_f32_e32 v67, v64, v67
	v_fma_f32 v42, v42, v44, -v36
	v_fmac_f32_e32 v38, v43, v44
	s_waitcnt vmcnt(9)
	v_pk_mul_f32 v[94:95], v[74:75], v[76:77] op_sel:[1,0] op_sel_hi:[0,1]
	v_fma_f32 v43, v64, v66, -v45
	v_fmac_f32_e32 v67, v65, v66
	v_mul_f32_e32 v96, v74, v76
	s_waitcnt vmcnt(8)
	v_mul_f32_e32 v45, v33, v69
	v_mul_f32_e32 v32, v39, v69
	v_add_f32_e32 v61, v94, v95
	s_waitcnt vmcnt(7)
	v_mul_f32_e32 v65, v42, v71
	v_mul_f32_e32 v64, v38, v71
	v_fma_f32 v102, v68, v39, -v45
	v_fmac_f32_e32 v32, v68, v33
	v_fmac_f32_e32 v65, v70, v38
	v_fma_f32 v44, -v75, v77, v96
	s_waitcnt vmcnt(6)
	v_mul_f32_e32 v66, v67, v73
	s_waitcnt vmcnt(5)
	v_mul_f32_e32 v69, v61, v79
	v_mul_f32_e32 v36, v44, v79
	v_fma_f32 v45, v72, v43, -v66
	v_fma_f32 v44, v78, v44, -v69
	;; [unrolled: 1-line block ×3, first 2 shown]
	s_waitcnt vmcnt(3)
	v_mul_f32_e32 v33, v80, v82
	v_pk_mul_f32 v[38:39], v[80:81], v[82:83] op_sel:[1,0] op_sel_hi:[0,1]
	v_fma_f32 v33, -v81, v83, v33
	v_add_f32_e32 v38, v38, v39
	s_waitcnt vmcnt(2)
	v_mul_f32_e32 v39, v38, v85
	v_mul_f32_e32 v66, v33, v85
	s_waitcnt vmcnt(1)
	v_pk_mul_f32 v[68:69], v[86:87], v[22:23] op_sel:[0,1]
	v_fma_f32 v64, v84, v33, -v39
	v_fmac_f32_e32 v66, v84, v38
	v_pk_fma_f32 v[38:39], v[86:87], v[22:23], v[68:69] op_sel:[0,0,1] op_sel_hi:[1,1,0]
	v_pk_fma_f32 v[22:23], v[86:87], v[22:23], v[68:69] op_sel:[0,0,1] op_sel_hi:[1,0,0] neg_lo:[1,0,0] neg_hi:[1,0,0]
	v_mul_f32_e32 v37, v43, v73
	v_mov_b32_e32 v39, v23
	v_pk_mul_f32 v[22:23], v[88:89], v[8:9] op_sel:[0,1]
	v_fmac_f32_e32 v37, v72, v67
	v_pk_fma_f32 v[68:69], v[88:89], v[8:9], v[22:23] op_sel:[0,0,1] op_sel_hi:[1,1,0]
	v_pk_fma_f32 v[8:9], v[88:89], v[8:9], v[22:23] op_sel:[0,0,1] op_sel_hi:[1,0,0] neg_lo:[1,0,0] neg_hi:[1,0,0]
	v_fmac_f32_e32 v36, v78, v61
	v_mov_b32_e32 v69, v9
	s_waitcnt vmcnt(0)
	v_pk_mul_f32 v[8:9], v[90:91], v[18:19] op_sel:[0,1]
	v_pk_add_f32 v[22:23], v[38:39], v[68:69] neg_lo:[0,1] neg_hi:[0,1]
	v_pk_fma_f32 v[72:73], v[90:91], v[18:19], v[8:9] op_sel:[0,0,1] op_sel_hi:[1,1,0]
	v_pk_fma_f32 v[8:9], v[90:91], v[18:19], v[8:9] op_sel:[0,0,1] op_sel_hi:[1,0,0] neg_lo:[1,0,0] neg_hi:[1,0,0]
	global_load_dwordx2 v[42:43], v59, s[22:23]
	v_mov_b32_e32 v73, v9
	v_pk_mul_f32 v[8:9], v[92:93], v[4:5] op_sel:[0,1]
	v_pk_add_f32 v[78:79], v[68:69], v[72:73] neg_lo:[0,1] neg_hi:[0,1]
	v_pk_fma_f32 v[76:77], v[92:93], v[4:5], v[8:9] op_sel:[0,0,1] op_sel_hi:[1,1,0]
	v_pk_fma_f32 v[4:5], v[92:93], v[4:5], v[8:9] op_sel:[0,0,1] op_sel_hi:[1,0,0] neg_lo:[1,0,0] neg_hi:[1,0,0]
	v_pk_mul_f32 v[18:19], v[78:79], s[18:19] op_sel:[1,0] op_sel_hi:[0,0]
	v_mov_b32_e32 v77, v5
	v_pk_add_f32 v[4:5], v[68:69], v[72:73]
	v_pk_add_f32 v[70:71], v[38:39], v[76:77] neg_lo:[0,1] neg_hi:[0,1]
	v_pk_fma_f32 v[4:5], v[4:5], 0.5, v[34:35] op_sel_hi:[1,0,1] neg_lo:[1,0,0] neg_hi:[1,0,0]
	v_pk_add_f32 v[74:75], v[76:77], v[72:73] neg_lo:[0,1] neg_hi:[0,1]
	v_pk_fma_f32 v[8:9], v[70:71], s[20:21], v[4:5] op_sel:[1,0,0] op_sel_hi:[0,0,1] neg_lo:[1,0,0] neg_hi:[1,0,0]
	v_pk_add_f32 v[22:23], v[22:23], v[74:75]
	v_pk_fma_f32 v[8:9], v[78:79], s[18:19], v[8:9] op_sel:[1,0,0] op_sel_hi:[0,0,1] neg_lo:[1,0,0] neg_hi:[1,0,0]
	v_pk_mul_f32 v[74:75], v[22:23], s[0:1] op_sel_hi:[1,0]
	v_pk_fma_f32 v[4:5], v[70:71], s[20:21], v[4:5] op_sel:[1,0,0] op_sel_hi:[0,0,1]
	v_add_f32_e32 v59, v74, v8
	v_add_f32_e32 v8, v19, v5
	v_add_f32_e32 v33, v75, v8
	v_pk_fma_f32 v[4:5], v[78:79], s[18:19], v[4:5] op_sel:[1,0,0] op_sel_hi:[0,0,1]
	v_lshlrev_b32_sdwa v8, v47, v57 dst_sel:DWORD dst_unused:UNUSED_PAD src0_sel:DWORD src1_sel:BYTE_1
	v_mov_b32_e32 v5, v9
	v_bfe_u32 v9, v57, 16, 8
	v_or_b32_e32 v18, 16, v55
	global_load_dwordx2 v[84:85], v8, s[22:23] offset:2048
	v_lshl_or_b32 v9, v9, 3, v49
	v_mul_lo_u32 v8, v28, v18
	v_lshlrev_b32_sdwa v18, v47, v8 dst_sel:DWORD dst_unused:UNUSED_PAD src0_sel:DWORD src1_sel:BYTE_0
	v_lshlrev_b32_sdwa v19, v47, v8 dst_sel:DWORD dst_unused:UNUSED_PAD src0_sel:DWORD src1_sel:BYTE_1
	global_load_dwordx2 v[86:87], v9, s[22:23]
	global_load_dwordx2 v[80:81], v18, s[22:23]
	global_load_dwordx2 v[82:83], v19, s[22:23] offset:2048
	v_bfe_u32 v8, v8, 16, 8
	v_or_b32_e32 v9, 32, v55
	v_lshl_or_b32 v8, v8, 3, v49
	v_mul_lo_u32 v9, v28, v9
	v_lshlrev_b32_sdwa v18, v47, v9 dst_sel:DWORD dst_unused:UNUSED_PAD src0_sel:DWORD src1_sel:BYTE_0
	global_load_dwordx2 v[88:89], v8, s[22:23]
	v_lshlrev_b32_sdwa v8, v47, v9 dst_sel:DWORD dst_unused:UNUSED_PAD src0_sel:DWORD src1_sel:BYTE_1
	v_bfe_u32 v9, v9, 16, 8
	global_load_dwordx2 v[90:91], v18, s[22:23]
	global_load_dwordx2 v[92:93], v8, s[22:23] offset:2048
	v_lshl_or_b32 v8, v9, 3, v49
	global_load_dwordx2 v[94:95], v8, s[22:23]
	v_or_b32_e32 v8, 48, v55
	v_mul_lo_u32 v8, v28, v8
	v_lshlrev_b32_sdwa v9, v47, v8 dst_sel:DWORD dst_unused:UNUSED_PAD src0_sel:DWORD src1_sel:BYTE_0
	v_pk_fma_f32 v[74:75], v[22:23], s[0:1], v[4:5] op_sel_hi:[1,0,1]
	v_pk_add_f32 v[4:5], v[34:35], v[38:39]
	v_lshlrev_b32_sdwa v18, v47, v8 dst_sel:DWORD dst_unused:UNUSED_PAD src0_sel:DWORD src1_sel:BYTE_1
	global_load_dwordx2 v[96:97], v9, s[22:23]
	global_load_dwordx2 v[98:99], v18, s[22:23] offset:2048
	v_pk_add_f32 v[4:5], v[4:5], v[68:69]
	v_bfe_u32 v8, v8, 16, 8
	v_pk_add_f32 v[4:5], v[4:5], v[72:73]
	v_lshl_or_b32 v8, v8, 3, v49
	global_load_dwordx2 v[100:101], v8, s[22:23]
	v_pk_add_f32 v[4:5], v[4:5], v[76:77]
	s_nop 0
	v_pk_mul_f32 v[8:9], v[4:5], v[32:33] op_sel_hi:[1,0]
	s_nop 0
	v_pk_fma_f32 v[22:23], v[4:5], v[102:103], v[8:9] op_sel:[0,0,1] op_sel_hi:[1,1,0]
	v_pk_fma_f32 v[18:19], v[4:5], v[102:103], v[8:9] op_sel:[0,0,1] op_sel_hi:[1,0,0] neg_lo:[0,0,1] neg_hi:[0,0,1]
	v_or_b32_e32 v4, 64, v55
	v_mul_lo_u32 v18, v28, v4
	v_lshlrev_b32_sdwa v23, v47, v18 dst_sel:DWORD dst_unused:UNUSED_PAD src0_sel:DWORD src1_sel:BYTE_0
	v_lshlrev_b32_sdwa v32, v47, v18 dst_sel:DWORD dst_unused:UNUSED_PAD src0_sel:DWORD src1_sel:BYTE_1
	global_load_dwordx2 v[4:5], v23, s[22:23]
	global_load_dwordx2 v[8:9], v32, s[22:23] offset:2048
	v_bfe_u32 v18, v18, 16, 8
	v_lshl_or_b32 v18, v18, 3, v49
	v_mov_b32_e32 v23, v19
	global_load_dwordx2 v[18:19], v18, s[22:23]
	v_mul_f32_e32 v32, v33, v65
	global_load_dwordx4 v[108:111], v53, s[16:17] offset:112
	global_load_dwordx4 v[112:115], v53, s[16:17] offset:128
	v_mul_f32_e32 v55, v59, v65
	v_fma_f32 v33, v33, v103, -v55
	v_fmac_f32_e32 v32, v59, v103
	v_pk_add_f32 v[102:103], v[38:39], v[76:77]
	v_pk_add_f32 v[38:39], v[68:69], v[38:39] neg_lo:[0,1] neg_hi:[0,1]
	v_pk_fma_f32 v[34:35], v[102:103], 0.5, v[34:35] op_sel_hi:[1,0,1] neg_lo:[1,0,0] neg_hi:[1,0,0]
	v_pk_add_f32 v[68:69], v[72:73], v[76:77] neg_lo:[0,1] neg_hi:[0,1]
	v_pk_fma_f32 v[72:73], v[78:79], s[20:21], v[34:35] op_sel:[1,0,0] op_sel_hi:[0,0,1]
	v_pk_add_f32 v[38:39], v[38:39], v[68:69]
	v_pk_mul_f32 v[68:69], v[70:71], s[18:19] op_sel:[1,0] op_sel_hi:[0,0]
	v_pk_fma_f32 v[34:35], v[78:79], s[20:21], v[34:35] op_sel:[1,0,0] op_sel_hi:[0,0,1] neg_lo:[1,0,0] neg_hi:[1,0,0]
	v_pk_fma_f32 v[72:73], v[70:71], s[18:19], v[72:73] op_sel:[1,0,0] op_sel_hi:[0,0,1] neg_lo:[1,0,0] neg_hi:[1,0,0]
	v_pk_mul_f32 v[76:77], v[38:39], s[0:1] op_sel_hi:[1,0]
	v_add_f32_e32 v55, v69, v35
	v_pk_fma_f32 v[34:35], v[70:71], s[18:19], v[34:35] op_sel:[1,0,0] op_sel_hi:[0,0,1]
	v_add_f32_e32 v53, v76, v72
	v_add_f32_e32 v55, v77, v55
	v_mov_b32_e32 v35, v73
	v_pk_fma_f32 v[34:35], v[38:39], s[0:1], v[34:35] op_sel_hi:[1,0,1]
	v_mul_f32_e32 v38, v55, v37
	v_mul_f32_e32 v37, v53, v37
	v_pk_mul_f32 v[68:69], v[34:35], v[36:37] op_sel_hi:[1,0]
	v_fmac_f32_e32 v38, v53, v45
	v_fma_f32 v39, v55, v45, -v37
	v_pk_fma_f32 v[36:37], v[34:35], v[44:45], v[68:69] op_sel:[0,0,1] op_sel_hi:[1,1,0]
	v_pk_fma_f32 v[34:35], v[34:35], v[44:45], v[68:69] op_sel:[0,0,1] op_sel_hi:[1,0,0] neg_lo:[0,0,1] neg_hi:[0,0,1]
	v_pk_mul_f32 v[44:45], v[74:75], v[66:67] op_sel_hi:[1,0]
	v_mov_b32_e32 v37, v35
	v_pk_fma_f32 v[34:35], v[74:75], v[64:65], v[44:45] op_sel:[0,0,1] op_sel_hi:[1,1,0]
	v_pk_fma_f32 v[44:45], v[74:75], v[64:65], v[44:45] op_sel:[0,0,1] op_sel_hi:[1,0,0] neg_lo:[0,0,1] neg_hi:[0,0,1]
	s_nop 0
	v_mov_b32_e32 v35, v45
	s_waitcnt vmcnt(15)
	v_mul_f32_e32 v44, v42, v84
	v_fma_f32 v45, -v43, v85, v44
	v_pk_mul_f32 v[42:43], v[42:43], v[84:85] op_sel:[1,0] op_sel_hi:[0,1]
	v_add_f32_e32 v42, v42, v43
	s_waitcnt vmcnt(14)
	v_mul_f32_e32 v66, v45, v87
	v_mul_f32_e32 v43, v42, v87
	v_fmac_f32_e32 v66, v86, v42
	s_waitcnt vmcnt(12)
	v_mul_f32_e32 v42, v81, v83
	v_fma_f32 v44, v86, v45, -v43
	v_fma_f32 v42, v80, v82, -v42
	v_mul_f32_e32 v43, v80, v83
	v_fmac_f32_e32 v43, v81, v82
	s_waitcnt vmcnt(11)
	v_mul_f32_e32 v53, v42, v89
	v_mul_f32_e32 v45, v43, v89
	v_fmac_f32_e32 v53, v88, v43
	s_waitcnt vmcnt(9)
	v_mul_f32_e32 v43, v90, v93
	v_fma_f32 v45, v88, v42, -v45
	v_mul_f32_e32 v42, v91, v93
	v_fmac_f32_e32 v43, v91, v92
	v_fma_f32 v42, v90, v92, -v42
	s_waitcnt vmcnt(8)
	v_mul_f32_e32 v55, v43, v95
	v_fma_f32 v55, v94, v42, -v55
	v_mul_f32_e32 v57, v42, v95
	s_waitcnt vmcnt(6)
	v_mul_f32_e32 v42, v96, v98
	v_fmac_f32_e32 v57, v94, v43
	v_fma_f32 v59, -v97, v99, v42
	v_pk_mul_f32 v[42:43], v[96:97], v[98:99] op_sel:[1,0] op_sel_hi:[0,1]
	v_add_f32_e32 v43, v42, v43
	s_waitcnt vmcnt(5)
	v_mul_f32_e32 v42, v43, v101
	v_fma_f32 v64, v100, v59, -v42
	v_mul_f32_e32 v42, v59, v101
	v_fmac_f32_e32 v42, v100, v43
	v_and_b32_e32 v43, 15, v27
	v_mul_lo_u32 v59, v28, v43
	v_lshlrev_b32_sdwa v61, v47, v59 dst_sel:DWORD dst_unused:UNUSED_PAD src0_sel:DWORD src1_sel:BYTE_0
	v_lshlrev_b32_sdwa v65, v47, v59 dst_sel:DWORD dst_unused:UNUSED_PAD src0_sel:DWORD src1_sel:BYTE_1
	global_load_dwordx2 v[68:69], v61, s[22:23]
	global_load_dwordx2 v[70:71], v65, s[22:23] offset:2048
	s_waitcnt vmcnt(5)
	v_mul_f32_e32 v61, v4, v8
	v_fma_f32 v61, -v5, v9, v61
	v_pk_mul_f32 v[4:5], v[4:5], v[8:9] op_sel:[1,0] op_sel_hi:[0,1]
	v_add_f32_e32 v4, v4, v5
	s_waitcnt vmcnt(4)
	v_mul_f32_e32 v5, v4, v19
	v_mul_f32_e32 v74, v61, v19
	v_fma_f32 v72, v18, v61, -v5
	v_fmac_f32_e32 v74, v18, v4
	s_waitcnt vmcnt(3)
	v_pk_mul_f32 v[4:5], v[108:109], v[24:25] op_sel:[0,1]
	s_nop 0
	v_pk_fma_f32 v[8:9], v[108:109], v[24:25], v[4:5] op_sel:[0,0,1] op_sel_hi:[1,1,0]
	v_pk_fma_f32 v[4:5], v[108:109], v[24:25], v[4:5] op_sel:[0,0,1] op_sel_hi:[1,0,0] neg_lo:[1,0,0] neg_hi:[1,0,0]
	s_nop 0
	v_mov_b32_e32 v9, v5
	v_pk_mul_f32 v[4:5], v[110:111], v[14:15] op_sel:[0,1]
	s_nop 0
	v_pk_fma_f32 v[76:77], v[110:111], v[14:15], v[4:5] op_sel:[0,0,1] op_sel_hi:[1,1,0]
	v_pk_fma_f32 v[4:5], v[110:111], v[14:15], v[4:5] op_sel:[0,0,1] op_sel_hi:[1,0,0] neg_lo:[1,0,0] neg_hi:[1,0,0]
	s_nop 0
	v_mov_b32_e32 v77, v5
	s_waitcnt vmcnt(2)
	v_pk_mul_f32 v[4:5], v[112:113], v[20:21] op_sel:[0,1]
	v_pk_add_f32 v[18:19], v[8:9], v[76:77] neg_lo:[0,1] neg_hi:[0,1]
	v_pk_fma_f32 v[78:79], v[112:113], v[20:21], v[4:5] op_sel:[0,0,1] op_sel_hi:[1,1,0]
	v_pk_fma_f32 v[4:5], v[112:113], v[20:21], v[4:5] op_sel:[0,0,1] op_sel_hi:[1,0,0] neg_lo:[1,0,0] neg_hi:[1,0,0]
	s_nop 0
	v_mov_b32_e32 v79, v5
	v_pk_mul_f32 v[4:5], v[114:115], v[10:11] op_sel:[0,1]
	v_pk_add_f32 v[84:85], v[76:77], v[78:79] neg_lo:[0,1] neg_hi:[0,1]
	v_pk_fma_f32 v[80:81], v[114:115], v[10:11], v[4:5] op_sel:[0,0,1] op_sel_hi:[1,1,0]
	v_pk_fma_f32 v[4:5], v[114:115], v[10:11], v[4:5] op_sel:[0,0,1] op_sel_hi:[1,0,0] neg_lo:[1,0,0] neg_hi:[1,0,0]
	v_pk_mul_f32 v[14:15], v[84:85], s[18:19] op_sel:[1,0] op_sel_hi:[0,0]
	v_mov_b32_e32 v81, v5
	v_pk_add_f32 v[4:5], v[76:77], v[78:79]
	v_pk_add_f32 v[82:83], v[8:9], v[80:81] neg_lo:[0,1] neg_hi:[0,1]
	v_pk_fma_f32 v[4:5], v[4:5], 0.5, v[40:41] op_sel_hi:[1,0,1] neg_lo:[1,0,0] neg_hi:[1,0,0]
	v_pk_add_f32 v[20:21], v[80:81], v[78:79] neg_lo:[0,1] neg_hi:[0,1]
	v_pk_fma_f32 v[10:11], v[82:83], s[20:21], v[4:5] op_sel:[1,0,0] op_sel_hi:[0,0,1] neg_lo:[1,0,0] neg_hi:[1,0,0]
	v_pk_add_f32 v[18:19], v[18:19], v[20:21]
	v_pk_fma_f32 v[4:5], v[82:83], s[20:21], v[4:5] op_sel:[1,0,0] op_sel_hi:[0,0,1]
	v_pk_mul_f32 v[20:21], v[18:19], s[0:1] op_sel_hi:[1,0]
	v_add_f32_e32 v14, v15, v5
	v_add_f32_e32 v61, v21, v14
	v_pk_add_f32 v[14:15], v[40:41], v[8:9]
	v_pk_fma_f32 v[10:11], v[84:85], s[18:19], v[10:11] op_sel:[1,0,0] op_sel_hi:[0,0,1] neg_lo:[1,0,0] neg_hi:[1,0,0]
	v_pk_add_f32 v[14:15], v[14:15], v[76:77]
	v_add_f32_e32 v10, v20, v10
	v_pk_add_f32 v[14:15], v[14:15], v[78:79]
	v_pk_fma_f32 v[4:5], v[84:85], s[18:19], v[4:5] op_sel:[1,0,0] op_sel_hi:[0,0,1]
	v_pk_add_f32 v[20:21], v[14:15], v[80:81]
	v_mov_b32_e32 v5, v11
	v_pk_mul_f32 v[24:25], v[20:21], v[66:67] op_sel_hi:[1,0]
	v_pk_fma_f32 v[112:113], v[18:19], s[0:1], v[4:5] op_sel_hi:[1,0,1]
	v_pk_fma_f32 v[14:15], v[20:21], v[44:45], v[24:25] op_sel:[0,0,1] op_sel_hi:[1,1,0]
	v_pk_fma_f32 v[20:21], v[20:21], v[44:45], v[24:25] op_sel:[0,0,1] op_sel_hi:[1,0,0] neg_lo:[0,0,1] neg_hi:[0,0,1]
	v_bfe_u32 v15, v59, 16, 8
	v_or_b32_e32 v20, 16, v43
	v_mul_lo_u32 v20, v28, v20
	v_lshl_or_b32 v15, v15, 3, v49
	v_lshlrev_b32_sdwa v24, v47, v20 dst_sel:DWORD dst_unused:UNUSED_PAD src0_sel:DWORD src1_sel:BYTE_0
	v_lshlrev_b32_sdwa v25, v47, v20 dst_sel:DWORD dst_unused:UNUSED_PAD src0_sel:DWORD src1_sel:BYTE_1
	v_bfe_u32 v20, v20, 16, 8
	global_load_dwordx2 v[66:67], v15, s[22:23]
	v_lshl_or_b32 v15, v20, 3, v49
	global_load_dwordx2 v[86:87], v24, s[22:23]
	global_load_dwordx2 v[88:89], v25, s[22:23] offset:2048
	global_load_dwordx2 v[90:91], v15, s[22:23]
	v_or_b32_e32 v15, 32, v43
	v_mul_lo_u32 v15, v28, v15
	v_lshlrev_b32_sdwa v20, v47, v15 dst_sel:DWORD dst_unused:UNUSED_PAD src0_sel:DWORD src1_sel:BYTE_0
	v_lshlrev_b32_sdwa v24, v47, v15 dst_sel:DWORD dst_unused:UNUSED_PAD src0_sel:DWORD src1_sel:BYTE_1
	global_load_dwordx2 v[92:93], v20, s[22:23]
	global_load_dwordx2 v[94:95], v24, s[22:23] offset:2048
	v_or_b32_e32 v20, 48, v43
	v_bfe_u32 v15, v15, 16, 8
	v_mul_lo_u32 v20, v28, v20
	v_lshl_or_b32 v15, v15, 3, v49
	v_lshlrev_b32_sdwa v24, v47, v20 dst_sel:DWORD dst_unused:UNUSED_PAD src0_sel:DWORD src1_sel:BYTE_0
	global_load_dwordx2 v[96:97], v15, s[22:23]
	global_load_dwordx2 v[98:99], v24, s[22:23]
	v_lshlrev_b32_sdwa v15, v47, v20 dst_sel:DWORD dst_unused:UNUSED_PAD src0_sel:DWORD src1_sel:BYTE_1
	v_bfe_u32 v20, v20, 16, 8
	global_load_dwordx2 v[100:101], v15, s[22:23] offset:2048
	v_lshl_or_b32 v15, v20, 3, v49
	v_or_b32_e32 v20, 64, v43
	v_mul_lo_u32 v20, v28, v20
	global_load_dwordx2 v[102:103], v15, s[22:23]
	v_lshlrev_b32_sdwa v15, v47, v20 dst_sel:DWORD dst_unused:UNUSED_PAD src0_sel:DWORD src1_sel:BYTE_0
	v_lshlrev_b32_sdwa v24, v47, v20 dst_sel:DWORD dst_unused:UNUSED_PAD src0_sel:DWORD src1_sel:BYTE_1
	global_load_dwordx2 v[108:109], v15, s[22:23]
	global_load_dwordx2 v[110:111], v24, s[22:23] offset:2048
	v_bfe_u32 v4, v20, 16, 8
	v_and_b32_e32 v11, 60, v106
	v_lshl_or_b32 v4, v4, 3, v49
	v_lshlrev_b32_e32 v43, 3, v11
	global_load_dwordx2 v[4:5], v4, s[22:23]
	v_mov_b32_e32 v15, v21
	global_load_dwordx4 v[18:21], v43, s[16:17] offset:112
	v_mul_f32_e32 v24, v61, v53
	v_mul_f32_e32 v11, v10, v53
	v_fma_f32 v25, v61, v45, -v11
	v_fmac_f32_e32 v24, v10, v45
	v_pk_add_f32 v[10:11], v[8:9], v[80:81]
	v_pk_add_f32 v[44:45], v[76:77], v[8:9] neg_lo:[0,1] neg_hi:[0,1]
	v_pk_fma_f32 v[40:41], v[10:11], 0.5, v[40:41] op_sel_hi:[1,0,1] neg_lo:[1,0,0] neg_hi:[1,0,0]
	global_load_dwordx4 v[8:11], v43, s[16:17] offset:128
	v_pk_add_f32 v[76:77], v[78:79], v[80:81] neg_lo:[0,1] neg_hi:[0,1]
	v_pk_fma_f32 v[78:79], v[84:85], s[20:21], v[40:41] op_sel:[1,0,0] op_sel_hi:[0,0,1]
	v_pk_add_f32 v[44:45], v[44:45], v[76:77]
	v_pk_mul_f32 v[76:77], v[82:83], s[18:19] op_sel:[1,0] op_sel_hi:[0,0]
	v_pk_fma_f32 v[40:41], v[84:85], s[20:21], v[40:41] op_sel:[1,0,0] op_sel_hi:[0,0,1] neg_lo:[1,0,0] neg_hi:[1,0,0]
	v_pk_fma_f32 v[78:79], v[82:83], s[18:19], v[78:79] op_sel:[1,0,0] op_sel_hi:[0,0,1] neg_lo:[1,0,0] neg_hi:[1,0,0]
	v_pk_mul_f32 v[80:81], v[44:45], s[0:1] op_sel_hi:[1,0]
	v_add_f32_e32 v53, v77, v41
	v_pk_fma_f32 v[40:41], v[82:83], s[18:19], v[40:41] op_sel:[1,0,0] op_sel_hi:[0,0,1]
	v_and_b32_e32 v43, 60, v51
	v_add_f32_e32 v53, v81, v53
	v_mov_b32_e32 v41, v79
	v_lshlrev_b32_e32 v51, 3, v43
	v_add_f32_e32 v43, v80, v78
	v_pk_fma_f32 v[40:41], v[44:45], s[0:1], v[40:41] op_sel_hi:[1,0,1]
	v_mul_f32_e32 v44, v53, v57
	v_fmac_f32_e32 v44, v43, v55
	v_mul_f32_e32 v43, v43, v57
	v_pk_mul_f32 v[76:77], v[40:41], v[42:43] op_sel_hi:[1,0]
	v_fma_f32 v45, v53, v55, -v43
	v_pk_fma_f32 v[42:43], v[40:41], v[64:65], v[76:77] op_sel:[0,0,1] op_sel_hi:[1,1,0]
	v_pk_fma_f32 v[40:41], v[40:41], v[64:65], v[76:77] op_sel:[0,0,1] op_sel_hi:[1,0,0] neg_lo:[0,0,1] neg_hi:[0,0,1]
	v_pk_mul_f32 v[64:65], v[112:113], v[74:75] op_sel_hi:[1,0]
	v_mov_b32_e32 v43, v41
	v_pk_fma_f32 v[40:41], v[112:113], v[72:73], v[64:65] op_sel:[0,0,1] op_sel_hi:[1,1,0]
	v_pk_fma_f32 v[64:65], v[112:113], v[72:73], v[64:65] op_sel:[0,0,1] op_sel_hi:[1,0,0] neg_lo:[0,0,1] neg_hi:[0,0,1]
	s_waitcnt vmcnt(15)
	v_mul_f32_e32 v53, v68, v70
	v_mov_b32_e32 v41, v65
	v_fma_f32 v53, -v69, v71, v53
	v_pk_mul_f32 v[64:65], v[68:69], v[70:71] op_sel:[1,0] op_sel_hi:[0,1]
	v_add_f32_e32 v55, v64, v65
	v_and_b32_e32 v79, 15, v105
	s_waitcnt vmcnt(14)
	v_mul_f32_e32 v70, v53, v67
	v_mul_f32_e32 v57, v55, v67
	v_fmac_f32_e32 v70, v66, v55
	s_waitcnt vmcnt(12)
	v_mul_f32_e32 v55, v86, v89
	v_fma_f32 v68, v66, v53, -v57
	v_mul_f32_e32 v53, v87, v89
	v_fmac_f32_e32 v55, v87, v88
	v_fma_f32 v53, v86, v88, -v53
	s_waitcnt vmcnt(11)
	v_mul_f32_e32 v57, v55, v91
	s_waitcnt vmcnt(9)
	v_mul_f32_e32 v61, v92, v95
	v_fma_f32 v57, v90, v53, -v57
	v_mul_f32_e32 v59, v53, v91
	v_mul_f32_e32 v53, v93, v95
	v_fmac_f32_e32 v61, v93, v94
	v_fmac_f32_e32 v59, v90, v55
	v_fma_f32 v55, v92, v94, -v53
	s_waitcnt vmcnt(8)
	v_mul_f32_e32 v53, v61, v97
	v_fma_f32 v53, v96, v55, -v53
	v_mul_f32_e32 v55, v55, v97
	s_waitcnt vmcnt(6)
	v_pk_mul_f32 v[64:65], v[98:99], v[100:101] op_sel:[1,0] op_sel_hi:[0,1]
	v_fmac_f32_e32 v55, v96, v61
	v_mul_f32_e32 v61, v98, v100
	v_add_f32_e32 v65, v64, v65
	v_fma_f32 v61, -v99, v101, v61
	s_waitcnt vmcnt(5)
	v_mul_f32_e32 v64, v65, v103
	v_mul_lo_u32 v67, v28, v79
	v_fma_f32 v64, v102, v61, -v64
	v_mul_f32_e32 v66, v61, v103
	s_waitcnt vmcnt(3)
	v_mul_f32_e32 v61, v108, v110
	v_pk_mul_f32 v[72:73], v[108:109], v[110:111] op_sel:[1,0] op_sel_hi:[0,1]
	v_lshlrev_b32_sdwa v69, v47, v67 dst_sel:DWORD dst_unused:UNUSED_PAD src0_sel:DWORD src1_sel:BYTE_0
	v_lshlrev_b32_sdwa v71, v47, v67 dst_sel:DWORD dst_unused:UNUSED_PAD src0_sel:DWORD src1_sel:BYTE_1
	v_bfe_u32 v67, v67, 16, 8
	v_fmac_f32_e32 v66, v102, v65
	v_fma_f32 v61, -v109, v111, v61
	v_add_f32_e32 v65, v72, v73
	v_lshl_or_b32 v67, v67, 3, v49
	global_load_dwordx2 v[74:75], v69, s[22:23]
	global_load_dwordx2 v[76:77], v71, s[22:23] offset:2048
	global_load_dwordx2 v[72:73], v67, s[22:23]
	s_waitcnt vmcnt(5)
	v_mul_f32_e32 v67, v65, v5
	v_mul_f32_e32 v80, v61, v5
	v_fma_f32 v78, v4, v61, -v67
	v_fmac_f32_e32 v80, v4, v65
	s_waitcnt vmcnt(4)
	v_pk_mul_f32 v[4:5], v[6:7], v[18:19] op_sel:[0,1]
	s_nop 0
	v_pk_fma_f32 v[82:83], v[6:7], v[18:19], v[4:5] op_sel:[0,0,1] op_sel_hi:[1,1,0]
	v_pk_fma_f32 v[4:5], v[6:7], v[18:19], v[4:5] op_sel:[0,0,1] op_sel_hi:[1,0,0] neg_lo:[0,0,1] neg_hi:[0,0,1]
	s_nop 0
	v_mov_b32_e32 v4, v21
	v_mov_b32_e32 v83, v5
	v_pk_mul_f32 v[4:5], v[16:17], v[4:5] op_sel_hi:[1,0]
	s_nop 0
	v_pk_fma_f32 v[6:7], v[16:17], v[20:21], v[4:5] op_sel:[0,0,1] op_sel_hi:[1,1,0]
	v_pk_fma_f32 v[4:5], v[16:17], v[20:21], v[4:5] op_sel:[0,0,1] op_sel_hi:[1,0,0] neg_lo:[0,0,1] neg_hi:[0,0,1]
	s_nop 0
	v_mov_b32_e32 v7, v5
	s_waitcnt vmcnt(3)
	v_pk_mul_f32 v[4:5], v[2:3], v[8:9] op_sel:[0,1]
	v_pk_add_f32 v[20:21], v[82:83], v[6:7] neg_lo:[0,1] neg_hi:[0,1]
	v_pk_fma_f32 v[16:17], v[2:3], v[8:9], v[4:5] op_sel:[0,0,1] op_sel_hi:[1,1,0]
	v_pk_fma_f32 v[2:3], v[2:3], v[8:9], v[4:5] op_sel:[0,0,1] op_sel_hi:[1,0,0] neg_lo:[0,0,1] neg_hi:[0,0,1]
	v_or_b32_e32 v8, 16, v79
	v_mov_b32_e32 v17, v3
	v_mov_b32_e32 v2, v11
	v_pk_mul_f32 v[2:3], v[12:13], v[2:3] op_sel_hi:[1,0]
	v_pk_add_f32 v[94:95], v[6:7], v[16:17] neg_lo:[0,1] neg_hi:[0,1]
	v_pk_fma_f32 v[88:89], v[12:13], v[10:11], v[2:3] op_sel:[0,0,1] op_sel_hi:[1,1,0]
	v_pk_fma_f32 v[2:3], v[12:13], v[10:11], v[2:3] op_sel:[0,0,1] op_sel_hi:[1,0,0] neg_lo:[0,0,1] neg_hi:[0,0,1]
	v_pk_mul_f32 v[12:13], v[94:95], s[18:19] op_sel:[1,0] op_sel_hi:[0,0]
	v_mul_lo_u32 v8, v28, v8
	v_lshlrev_b32_sdwa v12, v47, v8 dst_sel:DWORD dst_unused:UNUSED_PAD src0_sel:DWORD src1_sel:BYTE_0
	v_lshlrev_b32_sdwa v61, v47, v8 dst_sel:DWORD dst_unused:UNUSED_PAD src0_sel:DWORD src1_sel:BYTE_1
	v_bfe_u32 v65, v8, 16, 8
	global_load_dwordx2 v[8:9], v12, s[22:23]
	global_load_dwordx2 v[10:11], v61, s[22:23] offset:2048
	v_or_b32_e32 v61, 32, v79
	v_lshl_or_b32 v12, v65, 3, v49
	v_mul_lo_u32 v61, v28, v61
	global_load_dwordx2 v[90:91], v12, s[22:23]
	v_lshlrev_b32_sdwa v12, v47, v61 dst_sel:DWORD dst_unused:UNUSED_PAD src0_sel:DWORD src1_sel:BYTE_0
	global_load_dwordx2 v[86:87], v12, s[22:23]
	v_lshlrev_b32_sdwa v12, v47, v61 dst_sel:DWORD dst_unused:UNUSED_PAD src0_sel:DWORD src1_sel:BYTE_1
	v_mov_b32_e32 v89, v3
	global_load_dwordx2 v[92:93], v12, s[22:23] offset:2048
	v_bfe_u32 v12, v61, 16, 8
	v_pk_add_f32 v[84:85], v[88:89], v[16:17] neg_lo:[0,1] neg_hi:[0,1]
	v_lshl_or_b32 v12, v12, 3, v49
	v_pk_add_f32 v[20:21], v[20:21], v[84:85]
	global_load_dwordx2 v[84:85], v12, s[22:23]
	v_pk_add_f32 v[2:3], v[6:7], v[16:17]
	v_pk_add_f32 v[18:19], v[82:83], v[88:89] neg_lo:[0,1] neg_hi:[0,1]
	v_pk_fma_f32 v[2:3], v[2:3], 0.5, v[62:63] op_sel_hi:[1,0,1] neg_lo:[1,0,0] neg_hi:[1,0,0]
	v_pk_mul_f32 v[96:97], v[20:21], s[0:1] op_sel_hi:[1,0]
	v_pk_fma_f32 v[4:5], v[18:19], s[20:21], v[2:3] op_sel:[1,0,0] op_sel_hi:[0,0,1] neg_lo:[1,0,0] neg_hi:[1,0,0]
	v_pk_fma_f32 v[4:5], v[94:95], s[18:19], v[4:5] op_sel:[1,0,0] op_sel_hi:[0,0,1] neg_lo:[1,0,0] neg_hi:[1,0,0]
	v_pk_fma_f32 v[2:3], v[18:19], s[20:21], v[2:3] op_sel:[1,0,0] op_sel_hi:[0,0,1]
	v_add_f32_e32 v61, v96, v4
	v_add_f32_e32 v4, v13, v3
	;; [unrolled: 1-line block ×3, first 2 shown]
	v_pk_fma_f32 v[2:3], v[94:95], s[18:19], v[2:3] op_sel:[1,0,0] op_sel_hi:[0,0,1]
	v_or_b32_e32 v4, 48, v79
	v_mov_b32_e32 v3, v5
	v_mul_lo_u32 v4, v28, v4
	v_pk_fma_f32 v[102:103], v[20:21], s[0:1], v[2:3] op_sel_hi:[1,0,1]
	v_bfe_u32 v2, v4, 16, 8
	v_lshlrev_b32_sdwa v5, v47, v4 dst_sel:DWORD dst_unused:UNUSED_PAD src0_sel:DWORD src1_sel:BYTE_0
	v_lshl_or_b32 v2, v2, 3, v49
	v_lshlrev_b32_sdwa v12, v47, v4 dst_sel:DWORD dst_unused:UNUSED_PAD src0_sel:DWORD src1_sel:BYTE_1
	global_load_dwordx2 v[96:97], v5, s[22:23]
	global_load_dwordx2 v[98:99], v12, s[22:23] offset:2048
	global_load_dwordx2 v[100:101], v2, s[22:23]
	v_pk_add_f32 v[2:3], v[62:63], v[82:83]
	s_nop 0
	v_pk_add_f32 v[12:13], v[2:3], v[6:7]
	v_pk_add_f32 v[6:7], v[6:7], v[82:83] neg_lo:[0,1] neg_hi:[0,1]
	v_pk_add_f32 v[12:13], v[12:13], v[16:17]
	v_pk_add_f32 v[16:17], v[16:17], v[88:89] neg_lo:[0,1] neg_hi:[0,1]
	v_pk_add_f32 v[12:13], v[12:13], v[88:89]
	global_load_dwordx4 v[2:5], v51, s[16:17] offset:128
	global_load_dwordx4 v[108:111], v51, s[16:17] offset:112
	v_pk_mul_f32 v[70:71], v[12:13], v[70:71] op_sel_hi:[1,0]
	v_pk_add_f32 v[6:7], v[6:7], v[16:17]
	v_pk_fma_f32 v[20:21], v[12:13], v[68:69], v[70:71] op_sel:[0,0,1] op_sel_hi:[1,1,0]
	v_pk_fma_f32 v[12:13], v[12:13], v[68:69], v[70:71] op_sel:[0,0,1] op_sel_hi:[1,0,0] neg_lo:[0,0,1] neg_hi:[0,0,1]
	v_pk_add_f32 v[68:69], v[82:83], v[88:89]
	v_pk_mul_f32 v[70:71], v[18:19], s[18:19] op_sel:[1,0] op_sel_hi:[0,0]
	v_pk_fma_f32 v[62:63], v[68:69], 0.5, v[62:63] op_sel_hi:[1,0,1] neg_lo:[1,0,0] neg_hi:[1,0,0]
	v_pk_mul_f32 v[16:17], v[6:7], s[0:1] op_sel_hi:[1,0]
	v_pk_fma_f32 v[68:69], v[94:95], s[20:21], v[62:63] op_sel:[1,0,0] op_sel_hi:[0,0,1]
	v_pk_fma_f32 v[68:69], v[18:19], s[18:19], v[68:69] op_sel:[1,0,0] op_sel_hi:[0,0,1] neg_lo:[1,0,0] neg_hi:[1,0,0]
	v_pk_fma_f32 v[62:63], v[94:95], s[20:21], v[62:63] op_sel:[1,0,0] op_sel_hi:[0,0,1] neg_lo:[1,0,0] neg_hi:[1,0,0]
	v_mov_b32_e32 v21, v13
	v_mul_f32_e32 v12, v65, v59
	v_mul_f32_e32 v13, v61, v59
	v_add_f32_e32 v51, v16, v68
	v_add_f32_e32 v16, v71, v63
	v_fmac_f32_e32 v12, v61, v57
	v_fma_f32 v13, v65, v57, -v13
	v_add_f32_e32 v57, v17, v16
	v_pk_fma_f32 v[16:17], v[18:19], s[18:19], v[62:63] op_sel:[1,0,0] op_sel_hi:[0,0,1]
	v_mov_b32_e32 v17, v69
	v_pk_fma_f32 v[6:7], v[6:7], s[0:1], v[16:17] op_sel_hi:[1,0,1]
	v_mul_f32_e32 v16, v51, v55
	v_fma_f32 v63, v57, v53, -v16
	v_pk_mul_f32 v[16:17], v[6:7], v[66:67] op_sel_hi:[1,0]
	v_mul_f32_e32 v62, v57, v55
	v_pk_fma_f32 v[18:19], v[6:7], v[64:65], v[16:17] op_sel:[0,0,1] op_sel_hi:[1,1,0]
	v_pk_fma_f32 v[6:7], v[6:7], v[64:65], v[16:17] op_sel:[0,0,1] op_sel_hi:[1,0,0] neg_lo:[0,0,1] neg_hi:[0,0,1]
	v_fmac_f32_e32 v62, v51, v53
	v_mov_b32_e32 v19, v7
	v_pk_mul_f32 v[6:7], v[102:103], v[80:81] op_sel_hi:[1,0]
	s_waitcnt vmcnt(0)
	v_pk_mul_f32 v[58:59], v[58:59], v[110:111] op_sel_hi:[0,1]
	v_pk_fma_f32 v[16:17], v[102:103], v[78:79], v[6:7] op_sel:[0,0,1] op_sel_hi:[1,1,0]
	v_pk_fma_f32 v[6:7], v[102:103], v[78:79], v[6:7] op_sel:[0,0,1] op_sel_hi:[1,0,0] neg_lo:[0,0,1] neg_hi:[0,0,1]
	s_nop 0
	v_mul_f32_e32 v6, v74, v76
	v_mov_b32_e32 v17, v7
	v_fma_f32 v51, -v75, v77, v6
	v_pk_mul_f32 v[6:7], v[74:75], v[76:77] op_sel:[1,0] op_sel_hi:[0,1]
	v_add_f32_e32 v6, v6, v7
	v_mul_f32_e32 v7, v6, v73
	v_fma_f32 v68, v72, v51, -v7
	v_mul_f32_e32 v70, v51, v73
	v_mul_f32_e32 v7, v8, v11
	v_fmac_f32_e32 v70, v72, v6
	v_mul_f32_e32 v6, v9, v11
	v_fmac_f32_e32 v7, v9, v10
	v_fma_f32 v6, v8, v10, -v6
	v_mul_f32_e32 v8, v7, v91
	v_mul_f32_e32 v51, v86, v93
	v_fma_f32 v55, v90, v6, -v8
	v_mul_f32_e32 v69, v6, v91
	v_mul_f32_e32 v6, v87, v93
	v_fmac_f32_e32 v51, v87, v92
	v_fmac_f32_e32 v69, v90, v7
	v_fma_f32 v6, v86, v92, -v6
	v_mul_f32_e32 v7, v51, v85
	v_fma_f32 v65, v84, v6, -v7
	v_mul_f32_e32 v67, v6, v85
	v_or_b32_e32 v6, 64, v79
	v_mul_lo_u32 v6, v28, v6
	v_lshlrev_b32_sdwa v53, v47, v6 dst_sel:DWORD dst_unused:UNUSED_PAD src0_sel:DWORD src1_sel:BYTE_0
	v_lshlrev_b32_sdwa v47, v47, v6 dst_sel:DWORD dst_unused:UNUSED_PAD src0_sel:DWORD src1_sel:BYTE_1
	v_bfe_u32 v6, v6, 16, 8
	v_lshl_or_b32 v49, v6, 3, v49
	global_load_dwordx2 v[8:9], v53, s[22:23]
	global_load_dwordx2 v[10:11], v47, s[22:23] offset:2048
	global_load_dwordx2 v[6:7], v49, s[22:23]
	v_pk_mul_f32 v[72:73], v[96:97], v[98:99] op_sel:[1,0] op_sel_hi:[0,1]
	v_mul_f32_e32 v47, v96, v98
	v_add_f32_e32 v49, v72, v73
	v_pk_mul_f32 v[72:73], v[60:61], v[108:109] op_sel_hi:[0,1]
	v_fma_f32 v47, -v97, v99, v47
	v_pk_fma_f32 v[60:61], v[56:57], v[108:109], v[72:73] op_sel:[0,0,1] op_sel_hi:[1,1,0]
	v_pk_fma_f32 v[56:57], v[56:57], v[108:109], v[72:73] op_sel:[0,0,1] op_sel_hi:[0,1,0] neg_lo:[1,0,0] neg_hi:[1,0,0]
	v_fmac_f32_e32 v67, v84, v51
	v_mul_f32_e32 v51, v49, v101
	v_mul_f32_e32 v66, v47, v101
	v_mov_b32_e32 v61, v57
	v_pk_fma_f32 v[56:57], v[52:53], v[110:111], v[58:59] op_sel:[0,0,1] op_sel_hi:[1,1,0]
	v_pk_fma_f32 v[52:53], v[52:53], v[110:111], v[58:59] op_sel:[0,0,1] op_sel_hi:[0,1,0] neg_lo:[1,0,0] neg_hi:[1,0,0]
	v_pk_mul_f32 v[58:59], v[54:55], v[2:3] op_sel_hi:[0,1]
	v_fmac_f32_e32 v66, v100, v49
	v_mov_b32_e32 v57, v53
	v_pk_fma_f32 v[52:53], v[48:49], v[2:3], v[58:59] op_sel:[0,0,1] op_sel_hi:[1,1,0]
	v_pk_fma_f32 v[2:3], v[48:49], v[2:3], v[58:59] op_sel:[0,0,1] op_sel_hi:[0,1,0] neg_lo:[1,0,0] neg_hi:[1,0,0]
	v_pk_mul_f32 v[48:49], v[50:51], v[4:5] op_sel_hi:[0,1]
	v_mov_b32_e32 v53, v3
	v_pk_fma_f32 v[2:3], v[46:47], v[4:5], v[48:49] op_sel:[0,0,1] op_sel_hi:[1,1,0]
	v_pk_fma_f32 v[4:5], v[46:47], v[4:5], v[48:49] op_sel:[0,0,1] op_sel_hi:[0,1,0] neg_lo:[1,0,0] neg_hi:[1,0,0]
	v_mov_b32_e32 v3, v5
	v_pk_add_f32 v[4:5], v[56:57], v[52:53]
	v_pk_add_f32 v[48:49], v[60:61], v[56:57] neg_lo:[0,1] neg_hi:[0,1]
	v_pk_add_f32 v[58:59], v[2:3], v[52:53] neg_lo:[0,1] neg_hi:[0,1]
	v_fma_f32 v64, v100, v47, -v51
	v_pk_fma_f32 v[50:51], v[4:5], 0.5, v[30:31] op_sel_hi:[1,0,1] neg_lo:[1,0,0] neg_hi:[1,0,0]
	v_pk_add_f32 v[72:73], v[60:61], v[2:3] neg_lo:[0,1] neg_hi:[0,1]
	v_pk_add_f32 v[74:75], v[56:57], v[52:53] neg_lo:[0,1] neg_hi:[0,1]
	v_pk_add_f32 v[48:49], v[48:49], v[58:59]
	v_pk_add_f32 v[58:59], v[30:31], v[60:61]
	v_pk_fma_f32 v[4:5], v[72:73], s[20:21], v[50:51] op_sel:[1,0,0] op_sel_hi:[0,0,1] neg_lo:[1,0,0] neg_hi:[1,0,0]
	v_pk_mul_f32 v[46:47], v[74:75], s[18:19] op_sel:[1,0] op_sel_hi:[0,0]
	v_pk_add_f32 v[58:59], v[58:59], v[56:57]
	v_pk_mul_f32 v[48:49], v[48:49], s[0:1] op_sel_hi:[1,0]
	v_sub_f32_e32 v54, v4, v46
	v_pk_fma_f32 v[50:51], v[72:73], s[20:21], v[50:51] op_sel:[1,0,0] op_sel_hi:[0,0,1]
	v_pk_add_f32 v[58:59], v[58:59], v[52:53]
	v_add_f32_e32 v78, v48, v54
	v_add_f32_e32 v54, v47, v51
	v_pk_add_f32 v[76:77], v[58:59], v[2:3]
	v_add_f32_e32 v79, v49, v54
	v_pk_mul_f32 v[70:71], v[76:77], v[70:71] op_sel_hi:[1,0]
	v_mul_f32_e32 v54, v79, v69
	v_pk_fma_f32 v[58:59], v[76:77], v[68:69], v[70:71] op_sel:[0,0,1] op_sel_hi:[1,1,0]
	v_pk_fma_f32 v[70:71], v[76:77], v[68:69], v[70:71] op_sel:[0,0,1] op_sel_hi:[1,0,0] neg_lo:[0,0,1] neg_hi:[0,0,1]
	v_mul_f32_e32 v68, v78, v69
	v_fmac_f32_e32 v54, v78, v55
	v_fma_f32 v55, v79, v55, -v68
	v_pk_add_f32 v[68:69], v[60:61], v[2:3]
	v_pk_add_f32 v[56:57], v[56:57], v[60:61] neg_lo:[0,1] neg_hi:[0,1]
	v_pk_fma_f32 v[30:31], v[68:69], 0.5, v[30:31] op_sel_hi:[1,0,1] neg_lo:[1,0,0] neg_hi:[1,0,0]
	v_pk_add_f32 v[2:3], v[52:53], v[2:3] neg_lo:[0,1] neg_hi:[0,1]
	v_pk_fma_f32 v[68:69], v[74:75], s[20:21], v[30:31] op_sel:[1,0,0] op_sel_hi:[0,0,1]
	v_pk_add_f32 v[2:3], v[56:57], v[2:3]
	v_mov_b32_e32 v59, v71
	v_pk_mul_f32 v[70:71], v[72:73], s[18:19] op_sel:[1,0] op_sel_hi:[0,0]
	v_pk_fma_f32 v[68:69], v[72:73], s[18:19], v[68:69] op_sel:[1,0,0] op_sel_hi:[0,0,1] neg_lo:[1,0,0] neg_hi:[1,0,0]
	v_pk_mul_f32 v[52:53], v[2:3], s[0:1] op_sel_hi:[1,0]
	v_pk_fma_f32 v[30:31], v[74:75], s[20:21], v[30:31] op_sel:[1,0,0] op_sel_hi:[0,0,1] neg_lo:[1,0,0] neg_hi:[1,0,0]
	v_add_f32_e32 v56, v52, v68
	v_add_f32_e32 v52, v71, v31
	v_pk_fma_f32 v[30:31], v[72:73], s[18:19], v[30:31] op_sel:[1,0,0] op_sel_hi:[0,0,1]
	v_add_f32_e32 v57, v53, v52
	v_mov_b32_e32 v31, v69
	v_pk_fma_f32 v[52:53], v[2:3], s[0:1], v[30:31] op_sel_hi:[1,0,1]
	v_mul_f32_e32 v2, v57, v67
	v_mul_f32_e32 v3, v56, v67
	v_fmac_f32_e32 v2, v56, v65
	v_fma_f32 v3, v57, v65, -v3
	v_pk_mul_f32 v[56:57], v[52:53], v[66:67] op_sel_hi:[1,0]
	s_nop 0
	v_pk_fma_f32 v[30:31], v[52:53], v[64:65], v[56:57] op_sel:[0,0,1] op_sel_hi:[1,1,0]
	v_pk_fma_f32 v[52:53], v[52:53], v[64:65], v[56:57] op_sel:[0,0,1] op_sel_hi:[1,0,0] neg_lo:[0,0,1] neg_hi:[0,0,1]
	s_nop 0
	v_mov_b32_e32 v31, v53
	s_cbranch_vccnz .LBB0_20
; %bb.17:
	v_mad_u64_u32 v[52:53], s[0:1], s12, v26, 0
	v_mov_b32_e32 v56, v53
	v_mad_u64_u32 v[56:57], s[0:1], s13, v26, v[56:57]
	s_movk_i32 s0, 0x25f
	v_mov_b32_e32 v53, v56
	v_mov_b32_e32 v56, 0x50
	v_cmp_lt_u32_e32 vcc, s0, v0
	s_movk_i32 s4, 0xc0
	s_nop 0
	v_cndmask_b32_e32 v56, 0, v56, vcc
	v_or_b32_e32 v64, v1, v56
	v_mad_u64_u32 v[56:57], s[0:1], s8, v64, 0
	v_mov_b32_e32 v60, v57
	v_mad_u64_u32 v[60:61], s[0:1], s9, v64, v[60:61]
	s_lshl_b64 s[0:1], s[6:7], 3
	s_add_u32 s0, s14, s0
	s_addc_u32 s1, s15, s1
	v_mov_b32_e32 v57, v60
	v_lshl_add_u64 v[52:53], v[52:53], 3, s[0:1]
	v_lshl_add_u64 v[56:57], v[56:57], 3, v[52:53]
	v_add_u32_e32 v61, 16, v64
	global_store_dwordx2 v[56:57], v[22:23], off
	v_mad_u64_u32 v[56:57], s[0:1], s8, v61, 0
	v_mov_b32_e32 v60, v57
	v_mad_u64_u32 v[60:61], s[0:1], s9, v61, v[60:61]
	v_mov_b32_e32 v57, v60
	v_lshl_add_u64 v[56:57], v[56:57], 3, v[52:53]
	v_or_b32_e32 v61, 32, v64
	global_store_dwordx2 v[56:57], v[32:33], off
	v_mad_u64_u32 v[56:57], s[0:1], s8, v61, 0
	v_mov_b32_e32 v60, v57
	v_mad_u64_u32 v[60:61], s[0:1], s9, v61, v[60:61]
	v_mov_b32_e32 v57, v60
	v_lshl_add_u64 v[56:57], v[56:57], 3, v[52:53]
	v_add_u32_e32 v61, 48, v64
	global_store_dwordx2 v[56:57], v[38:39], off
	v_mad_u64_u32 v[56:57], s[0:1], s8, v61, 0
	v_mov_b32_e32 v60, v57
	v_mad_u64_u32 v[60:61], s[0:1], s9, v61, v[60:61]
	v_mov_b32_e32 v57, v60
	v_lshl_add_u64 v[56:57], v[56:57], 3, v[52:53]
	v_add_u32_e32 v61, 64, v64
	global_store_dwordx2 v[56:57], v[36:37], off
	v_mad_u64_u32 v[56:57], s[0:1], s8, v61, 0
	v_mov_b32_e32 v60, v57
	v_mad_u64_u32 v[60:61], s[0:1], s9, v61, v[60:61]
	v_mov_b32_e32 v57, v60
	v_lshl_add_u64 v[56:57], v[56:57], 3, v[52:53]
	v_and_or_b32 v64, v107, s4, v104
	global_store_dwordx2 v[56:57], v[34:35], off
	v_mad_u64_u32 v[56:57], s[0:1], s8, v64, 0
	v_mov_b32_e32 v60, v57
	v_mad_u64_u32 v[60:61], s[0:1], s9, v64, v[60:61]
	v_mov_b32_e32 v57, v60
	v_lshl_add_u64 v[56:57], v[56:57], 3, v[52:53]
	v_add_u32_e32 v61, 16, v64
	global_store_dwordx2 v[56:57], v[14:15], off
	v_mad_u64_u32 v[56:57], s[0:1], s8, v61, 0
	v_mov_b32_e32 v60, v57
	v_mad_u64_u32 v[60:61], s[0:1], s9, v61, v[60:61]
	v_mov_b32_e32 v57, v60
	v_lshl_add_u64 v[56:57], v[56:57], 3, v[52:53]
	v_add_u32_e32 v61, 32, v64
	;; [unrolled: 7-line block ×4, first 2 shown]
	global_store_dwordx2 v[56:57], v[42:43], off
	v_mad_u64_u32 v[56:57], s[0:1], s8, v61, 0
	v_mov_b32_e32 v60, v57
	v_mad_u64_u32 v[60:61], s[0:1], s9, v61, v[60:61]
	v_mov_b32_e32 v57, v60
	v_lshl_add_u64 v[56:57], v[56:57], 3, v[52:53]
	v_and_or_b32 v64, v106, s4, v27
	global_store_dwordx2 v[56:57], v[40:41], off
	v_mad_u64_u32 v[56:57], s[0:1], s8, v64, 0
	v_mov_b32_e32 v60, v57
	v_mad_u64_u32 v[60:61], s[0:1], s9, v64, v[60:61]
	v_mov_b32_e32 v57, v60
	v_lshl_add_u64 v[56:57], v[56:57], 3, v[52:53]
	v_add_u32_e32 v61, 16, v64
	global_store_dwordx2 v[56:57], v[20:21], off
	v_mad_u64_u32 v[56:57], s[0:1], s8, v61, 0
	v_mov_b32_e32 v60, v57
	v_mad_u64_u32 v[60:61], s[0:1], s9, v61, v[60:61]
	v_mov_b32_e32 v57, v60
	v_lshl_add_u64 v[56:57], v[56:57], 3, v[52:53]
	v_add_u32_e32 v61, 32, v64
	;; [unrolled: 7-line block ×4, first 2 shown]
	global_store_dwordx2 v[56:57], v[18:19], off
	v_mad_u64_u32 v[56:57], s[0:1], s8, v61, 0
	v_mov_b32_e32 v60, v57
	v_mad_u64_u32 v[60:61], s[0:1], s9, v61, v[60:61]
	v_mov_b32_e32 v57, v60
	v_lshl_add_u64 v[56:57], v[56:57], 3, v[52:53]
	s_mov_b64 s[4:5], 0
	s_mov_b64 s[0:1], 0
	global_store_dwordx2 v[56:57], v[16:17], off
                                        ; implicit-def: $vgpr56_vgpr57
	s_and_saveexec_b64 s[16:17], s[2:3]
	s_cbranch_execz .LBB0_19
; %bb.18:
	v_mad_u64_u32 v[56:57], s[18:19], s8, v105, 0
	v_mov_b32_e32 v60, v57
	v_mad_u64_u32 v[60:61], s[18:19], s9, v105, v[60:61]
	v_mov_b32_e32 v57, v60
	v_lshl_add_u64 v[56:57], v[56:57], 3, v[52:53]
	v_add_u32_e32 v61, 31, v1
	global_store_dwordx2 v[56:57], v[58:59], off
	v_mad_u64_u32 v[56:57], s[18:19], s8, v61, 0
	v_mov_b32_e32 v60, v57
	v_mad_u64_u32 v[60:61], s[18:19], s9, v61, v[60:61]
	v_mov_b32_e32 v57, v60
	v_lshl_add_u64 v[56:57], v[56:57], 3, v[52:53]
	v_add_u32_e32 v61, 47, v1
	global_store_dwordx2 v[56:57], v[54:55], off
	v_mad_u64_u32 v[56:57], s[18:19], s8, v61, 0
	v_mov_b32_e32 v60, v57
	v_mad_u64_u32 v[60:61], s[18:19], s9, v61, v[60:61]
	v_mov_b32_e32 v57, v60
	v_lshl_add_u64 v[56:57], v[56:57], 3, v[52:53]
	v_add_u32_e32 v61, 63, v1
	global_store_dwordx2 v[56:57], v[2:3], off
	v_mad_u64_u32 v[56:57], s[18:19], s8, v61, 0
	v_mov_b32_e32 v60, v57
	v_mad_u64_u32 v[60:61], s[18:19], s9, v61, v[60:61]
	v_mov_b32_e32 v57, v60
	v_lshl_add_u64 v[56:57], v[56:57], 3, v[52:53]
	v_add_u32_e32 v61, 0x4f, v1
	global_store_dwordx2 v[56:57], v[30:31], off
	v_mad_u64_u32 v[56:57], s[18:19], s8, v61, 0
	v_mov_b32_e32 v60, v57
	v_mad_u64_u32 v[60:61], s[18:19], s9, v61, v[60:61]
	v_mov_b32_e32 v57, v60
	s_mov_b64 s[0:1], exec
	v_lshl_add_u64 v[56:57], v[56:57], 3, v[52:53]
.LBB0_19:
	s_or_b64 exec, exec, s[16:17]
	s_and_b64 vcc, exec, s[4:5]
	s_cbranch_vccnz .LBB0_21
	s_branch .LBB0_26
.LBB0_20:
	s_mov_b64 s[0:1], 0
                                        ; implicit-def: $vgpr56_vgpr57
	s_cbranch_execz .LBB0_26
.LBB0_21:
	v_cmp_gt_u64_e32 vcc, s[10:11], v[28:29]
                                        ; implicit-def: $vgpr56_vgpr57
	s_and_saveexec_b64 s[4:5], vcc
	s_cbranch_execz .LBB0_25
; %bb.22:
	v_mad_u64_u32 v[28:29], s[10:11], s12, v26, 0
	v_mov_b32_e32 v52, v29
	v_mad_u64_u32 v[52:53], s[10:11], s13, v26, v[52:53]
	s_movk_i32 s10, 0x25f
	v_mov_b32_e32 v26, 0x50
	v_cmp_lt_u32_e32 vcc, s10, v0
	v_mov_b32_e32 v29, v52
	s_lshl_b64 s[6:7], s[6:7], 3
	v_cndmask_b32_e32 v0, 0, v26, vcc
	v_or_b32_e32 v56, v1, v0
	v_mad_u64_u32 v[52:53], s[10:11], s8, v56, 0
	v_mov_b32_e32 v0, v53
	s_add_u32 s6, s14, s6
	v_mad_u64_u32 v[0:1], s[10:11], s9, v56, v[0:1]
	s_addc_u32 s7, s15, s7
	v_mov_b32_e32 v53, v0
	v_lshl_add_u64 v[0:1], v[28:29], 3, s[6:7]
	v_lshl_add_u64 v[28:29], v[52:53], 3, v[0:1]
	global_store_dwordx2 v[28:29], v[22:23], off
	v_add_u32_e32 v28, 16, v56
	v_mad_u64_u32 v[22:23], s[6:7], s8, v28, 0
	v_mov_b32_e32 v26, v23
	v_mad_u64_u32 v[28:29], s[6:7], s9, v28, v[26:27]
	v_mov_b32_e32 v23, v28
	v_lshl_add_u64 v[22:23], v[22:23], 3, v[0:1]
	v_or_b32_e32 v28, 32, v56
	global_store_dwordx2 v[22:23], v[32:33], off
	v_mad_u64_u32 v[22:23], s[6:7], s8, v28, 0
	v_mov_b32_e32 v26, v23
	v_mad_u64_u32 v[28:29], s[6:7], s9, v28, v[26:27]
	v_mov_b32_e32 v23, v28
	v_lshl_add_u64 v[22:23], v[22:23], 3, v[0:1]
	v_add_u32_e32 v28, 48, v56
	global_store_dwordx2 v[22:23], v[38:39], off
	v_mad_u64_u32 v[22:23], s[6:7], s8, v28, 0
	v_mov_b32_e32 v26, v23
	v_mad_u64_u32 v[28:29], s[6:7], s9, v28, v[26:27]
	v_mov_b32_e32 v23, v28
	v_lshl_add_u64 v[22:23], v[22:23], 3, v[0:1]
	v_add_u32_e32 v28, 64, v56
	global_store_dwordx2 v[22:23], v[36:37], off
	v_mad_u64_u32 v[22:23], s[6:7], s8, v28, 0
	v_mov_b32_e32 v26, v23
	v_mad_u64_u32 v[28:29], s[6:7], s9, v28, v[26:27]
	v_mov_b32_e32 v23, v28
	s_movk_i32 s10, 0xc0
	v_lshl_add_u64 v[22:23], v[22:23], 3, v[0:1]
	v_and_or_b32 v32, v107, s10, v104
	global_store_dwordx2 v[22:23], v[34:35], off
	v_mad_u64_u32 v[22:23], s[6:7], s8, v32, 0
	v_mov_b32_e32 v26, v23
	v_mad_u64_u32 v[28:29], s[6:7], s9, v32, v[26:27]
	v_mov_b32_e32 v23, v28
	v_lshl_add_u64 v[22:23], v[22:23], 3, v[0:1]
	global_store_dwordx2 v[22:23], v[14:15], off
	v_add_u32_e32 v23, 16, v32
	v_mad_u64_u32 v[14:15], s[6:7], s8, v23, 0
	v_mov_b32_e32 v22, v15
	v_mad_u64_u32 v[22:23], s[6:7], s9, v23, v[22:23]
	v_mov_b32_e32 v15, v22
	v_lshl_add_u64 v[14:15], v[14:15], 3, v[0:1]
	v_add_u32_e32 v23, 32, v32
	global_store_dwordx2 v[14:15], v[24:25], off
	v_mad_u64_u32 v[14:15], s[6:7], s8, v23, 0
	v_mov_b32_e32 v22, v15
	v_mad_u64_u32 v[22:23], s[6:7], s9, v23, v[22:23]
	v_mov_b32_e32 v15, v22
	v_lshl_add_u64 v[14:15], v[14:15], 3, v[0:1]
	v_add_u32_e32 v23, 48, v32
	global_store_dwordx2 v[14:15], v[44:45], off
	;; [unrolled: 7-line block ×3, first 2 shown]
	v_mad_u64_u32 v[14:15], s[6:7], s8, v23, 0
	v_mov_b32_e32 v22, v15
	v_mad_u64_u32 v[22:23], s[6:7], s9, v23, v[22:23]
	v_mov_b32_e32 v15, v22
	v_lshl_add_u64 v[14:15], v[14:15], 3, v[0:1]
	v_and_or_b32 v24, v106, s10, v27
	global_store_dwordx2 v[14:15], v[40:41], off
	v_mad_u64_u32 v[14:15], s[6:7], s8, v24, 0
	v_mov_b32_e32 v22, v15
	v_mad_u64_u32 v[22:23], s[6:7], s9, v24, v[22:23]
	v_mov_b32_e32 v15, v22
	v_lshl_add_u64 v[14:15], v[14:15], 3, v[0:1]
	global_store_dwordx2 v[14:15], v[20:21], off
	v_add_u32_e32 v21, 16, v24
	v_mad_u64_u32 v[14:15], s[6:7], s8, v21, 0
	v_mov_b32_e32 v20, v15
	v_mad_u64_u32 v[20:21], s[6:7], s9, v21, v[20:21]
	v_mov_b32_e32 v15, v20
	v_lshl_add_u64 v[14:15], v[14:15], 3, v[0:1]
	global_store_dwordx2 v[14:15], v[12:13], off
	v_add_u32_e32 v15, 32, v24
	v_mad_u64_u32 v[12:13], s[6:7], s8, v15, 0
	v_mov_b32_e32 v14, v13
	v_mad_u64_u32 v[14:15], s[6:7], s9, v15, v[14:15]
	v_mov_b32_e32 v13, v14
	v_lshl_add_u64 v[12:13], v[12:13], 3, v[0:1]
	v_add_u32_e32 v15, 48, v24
	global_store_dwordx2 v[12:13], v[62:63], off
	v_mad_u64_u32 v[12:13], s[6:7], s8, v15, 0
	v_mov_b32_e32 v14, v13
	v_mad_u64_u32 v[14:15], s[6:7], s9, v15, v[14:15]
	v_mov_b32_e32 v13, v14
	v_lshl_add_u64 v[12:13], v[12:13], 3, v[0:1]
	v_add_u32_e32 v15, 64, v24
	global_store_dwordx2 v[12:13], v[18:19], off
	v_mad_u64_u32 v[12:13], s[6:7], s8, v15, 0
	v_mov_b32_e32 v14, v13
	v_mad_u64_u32 v[14:15], s[6:7], s9, v15, v[14:15]
	v_mov_b32_e32 v13, v14
	v_lshl_add_u64 v[12:13], v[12:13], 3, v[0:1]
	s_mov_b64 s[10:11], s[0:1]
	global_store_dwordx2 v[12:13], v[16:17], off
                                        ; implicit-def: $vgpr56_vgpr57
	s_and_saveexec_b64 s[6:7], s[2:3]
	s_cbranch_execz .LBB0_24
; %bb.23:
	v_mov_b32_e32 v12, 0x78
	v_mad_u64_u32 v[12:13], s[2:3], s8, v12, v[0:1]
	s_mul_i32 s2, s9, 0x78
	s_nop 0
	v_add_u32_e32 v13, s2, v13
	global_store_dwordx2 v[12:13], v[58:59], off
	v_mov_b32_e32 v12, 0xf8
	v_mad_u64_u32 v[12:13], s[2:3], s8, v12, v[0:1]
	s_mul_i32 s2, s9, 0xf8
	s_nop 0
	v_add_u32_e32 v13, s2, v13
	global_store_dwordx2 v[12:13], v[54:55], off
	;; [unrolled: 6-line block ×4, first 2 shown]
	v_mov_b32_e32 v2, 0x278
	v_mad_u64_u32 v[56:57], s[2:3], s8, v2, v[0:1]
	s_mul_i32 s2, s9, 0x278
	s_nop 0
	v_add_u32_e32 v57, s2, v57
	s_or_b64 s[10:11], s[0:1], exec
.LBB0_24:
	s_or_b64 exec, exec, s[6:7]
	s_andn2_b64 s[0:1], s[0:1], exec
	s_and_b64 s[2:3], s[10:11], exec
	s_or_b64 s[0:1], s[0:1], s[2:3]
.LBB0_25:
	s_or_b64 exec, exec, s[4:5]
.LBB0_26:
	s_and_saveexec_b64 s[2:3], s[0:1]
	s_cbranch_execnz .LBB0_28
; %bb.27:
	s_endpgm
.LBB0_28:
	s_waitcnt vmcnt(1)
	v_mul_f32_e32 v0, v8, v10
	v_fma_f32 v2, -v9, v11, v0
	v_pk_mul_f32 v[0:1], v[8:9], v[10:11] op_sel:[1,0] op_sel_hi:[0,1]
	v_add_f32_e32 v1, v0, v1
	s_waitcnt vmcnt(0)
	v_mul_f32_e32 v0, v1, v7
	v_fma_f32 v0, v6, v2, -v0
	v_mul_f32_e32 v2, v2, v7
	v_fmac_f32_e32 v2, v6, v1
	v_pk_add_f32 v[6:7], v[50:51], v[46:47]
	v_pk_add_f32 v[4:5], v[4:5], v[46:47] neg_lo:[0,1] neg_hi:[0,1]
	s_nop 0
	v_mov_b32_e32 v7, v5
	v_pk_add_f32 v[4:5], v[48:49], v[6:7]
	s_nop 0
	v_pk_mul_f32 v[2:3], v[4:5], v[2:3] op_sel_hi:[1,0]
	s_nop 0
	v_pk_fma_f32 v[6:7], v[4:5], v[0:1], v[2:3] op_sel:[0,0,1] op_sel_hi:[1,1,0]
	v_pk_fma_f32 v[0:1], v[4:5], v[0:1], v[2:3] op_sel:[0,0,1] op_sel_hi:[1,0,0] neg_lo:[0,0,1] neg_hi:[0,0,1]
	s_nop 0
	v_mov_b32_e32 v7, v1
	global_store_dwordx2 v[56:57], v[6:7], off
	s_endpgm
	.section	.rodata,"a",@progbits
	.p2align	6, 0x0
	.amdhsa_kernel fft_rtc_back_len80_factors_2_2_4_5_wgs_190_tpt_5_dim3_sp_ip_CI_sbcc_twdbase8_3step_dirReg
		.amdhsa_group_segment_fixed_size 0
		.amdhsa_private_segment_fixed_size 0
		.amdhsa_kernarg_size 88
		.amdhsa_user_sgpr_count 2
		.amdhsa_user_sgpr_dispatch_ptr 0
		.amdhsa_user_sgpr_queue_ptr 0
		.amdhsa_user_sgpr_kernarg_segment_ptr 1
		.amdhsa_user_sgpr_dispatch_id 0
		.amdhsa_user_sgpr_kernarg_preload_length 0
		.amdhsa_user_sgpr_kernarg_preload_offset 0
		.amdhsa_user_sgpr_private_segment_size 0
		.amdhsa_uses_dynamic_stack 0
		.amdhsa_enable_private_segment 0
		.amdhsa_system_sgpr_workgroup_id_x 1
		.amdhsa_system_sgpr_workgroup_id_y 0
		.amdhsa_system_sgpr_workgroup_id_z 0
		.amdhsa_system_sgpr_workgroup_info 0
		.amdhsa_system_vgpr_workitem_id 0
		.amdhsa_next_free_vgpr 116
		.amdhsa_next_free_sgpr 27
		.amdhsa_accum_offset 116
		.amdhsa_reserve_vcc 1
		.amdhsa_float_round_mode_32 0
		.amdhsa_float_round_mode_16_64 0
		.amdhsa_float_denorm_mode_32 3
		.amdhsa_float_denorm_mode_16_64 3
		.amdhsa_dx10_clamp 1
		.amdhsa_ieee_mode 1
		.amdhsa_fp16_overflow 0
		.amdhsa_tg_split 0
		.amdhsa_exception_fp_ieee_invalid_op 0
		.amdhsa_exception_fp_denorm_src 0
		.amdhsa_exception_fp_ieee_div_zero 0
		.amdhsa_exception_fp_ieee_overflow 0
		.amdhsa_exception_fp_ieee_underflow 0
		.amdhsa_exception_fp_ieee_inexact 0
		.amdhsa_exception_int_div_zero 0
	.end_amdhsa_kernel
	.text
.Lfunc_end0:
	.size	fft_rtc_back_len80_factors_2_2_4_5_wgs_190_tpt_5_dim3_sp_ip_CI_sbcc_twdbase8_3step_dirReg, .Lfunc_end0-fft_rtc_back_len80_factors_2_2_4_5_wgs_190_tpt_5_dim3_sp_ip_CI_sbcc_twdbase8_3step_dirReg
                                        ; -- End function
	.section	.AMDGPU.csdata,"",@progbits
; Kernel info:
; codeLenInByte = 12024
; NumSgprs: 33
; NumVgprs: 116
; NumAgprs: 0
; TotalNumVgprs: 116
; ScratchSize: 0
; MemoryBound: 0
; FloatMode: 240
; IeeeMode: 1
; LDSByteSize: 0 bytes/workgroup (compile time only)
; SGPRBlocks: 4
; VGPRBlocks: 14
; NumSGPRsForWavesPerEU: 33
; NumVGPRsForWavesPerEU: 116
; AccumOffset: 116
; Occupancy: 4
; WaveLimiterHint : 1
; COMPUTE_PGM_RSRC2:SCRATCH_EN: 0
; COMPUTE_PGM_RSRC2:USER_SGPR: 2
; COMPUTE_PGM_RSRC2:TRAP_HANDLER: 0
; COMPUTE_PGM_RSRC2:TGID_X_EN: 1
; COMPUTE_PGM_RSRC2:TGID_Y_EN: 0
; COMPUTE_PGM_RSRC2:TGID_Z_EN: 0
; COMPUTE_PGM_RSRC2:TIDIG_COMP_CNT: 0
; COMPUTE_PGM_RSRC3_GFX90A:ACCUM_OFFSET: 28
; COMPUTE_PGM_RSRC3_GFX90A:TG_SPLIT: 0
	.text
	.p2alignl 6, 3212836864
	.fill 256, 4, 3212836864
	.type	__hip_cuid_26384993ff0af8cf,@object ; @__hip_cuid_26384993ff0af8cf
	.section	.bss,"aw",@nobits
	.globl	__hip_cuid_26384993ff0af8cf
__hip_cuid_26384993ff0af8cf:
	.byte	0                               ; 0x0
	.size	__hip_cuid_26384993ff0af8cf, 1

	.ident	"AMD clang version 19.0.0git (https://github.com/RadeonOpenCompute/llvm-project roc-6.4.0 25133 c7fe45cf4b819c5991fe208aaa96edf142730f1d)"
	.section	".note.GNU-stack","",@progbits
	.addrsig
	.addrsig_sym __hip_cuid_26384993ff0af8cf
	.amdgpu_metadata
---
amdhsa.kernels:
  - .agpr_count:     0
    .args:
      - .actual_access:  read_only
        .address_space:  global
        .offset:         0
        .size:           8
        .value_kind:     global_buffer
      - .address_space:  global
        .offset:         8
        .size:           8
        .value_kind:     global_buffer
      - .actual_access:  read_only
        .address_space:  global
        .offset:         16
        .size:           8
        .value_kind:     global_buffer
      - .actual_access:  read_only
        .address_space:  global
        .offset:         24
        .size:           8
        .value_kind:     global_buffer
      - .offset:         32
        .size:           8
        .value_kind:     by_value
      - .actual_access:  read_only
        .address_space:  global
        .offset:         40
        .size:           8
        .value_kind:     global_buffer
      - .actual_access:  read_only
        .address_space:  global
        .offset:         48
        .size:           8
        .value_kind:     global_buffer
      - .offset:         56
        .size:           4
        .value_kind:     by_value
      - .actual_access:  read_only
        .address_space:  global
        .offset:         64
        .size:           8
        .value_kind:     global_buffer
      - .actual_access:  read_only
        .address_space:  global
        .offset:         72
        .size:           8
        .value_kind:     global_buffer
      - .address_space:  global
        .offset:         80
        .size:           8
        .value_kind:     global_buffer
    .group_segment_fixed_size: 0
    .kernarg_segment_align: 8
    .kernarg_segment_size: 88
    .language:       OpenCL C
    .language_version:
      - 2
      - 0
    .max_flat_workgroup_size: 190
    .name:           fft_rtc_back_len80_factors_2_2_4_5_wgs_190_tpt_5_dim3_sp_ip_CI_sbcc_twdbase8_3step_dirReg
    .private_segment_fixed_size: 0
    .sgpr_count:     33
    .sgpr_spill_count: 0
    .symbol:         fft_rtc_back_len80_factors_2_2_4_5_wgs_190_tpt_5_dim3_sp_ip_CI_sbcc_twdbase8_3step_dirReg.kd
    .uniform_work_group_size: 1
    .uses_dynamic_stack: false
    .vgpr_count:     116
    .vgpr_spill_count: 0
    .wavefront_size: 64
amdhsa.target:   amdgcn-amd-amdhsa--gfx950
amdhsa.version:
  - 1
  - 2
...

	.end_amdgpu_metadata
